;; amdgpu-corpus repo=ROCm/rocFFT kind=compiled arch=gfx1030 opt=O3
	.text
	.amdgcn_target "amdgcn-amd-amdhsa--gfx1030"
	.amdhsa_code_object_version 6
	.protected	fft_rtc_fwd_len1960_factors_4_7_2_7_5_wgs_56_tpt_56_halfLds_half_ip_CI_unitstride_sbrr_dirReg ; -- Begin function fft_rtc_fwd_len1960_factors_4_7_2_7_5_wgs_56_tpt_56_halfLds_half_ip_CI_unitstride_sbrr_dirReg
	.globl	fft_rtc_fwd_len1960_factors_4_7_2_7_5_wgs_56_tpt_56_halfLds_half_ip_CI_unitstride_sbrr_dirReg
	.p2align	8
	.type	fft_rtc_fwd_len1960_factors_4_7_2_7_5_wgs_56_tpt_56_halfLds_half_ip_CI_unitstride_sbrr_dirReg,@function
fft_rtc_fwd_len1960_factors_4_7_2_7_5_wgs_56_tpt_56_halfLds_half_ip_CI_unitstride_sbrr_dirReg: ; @fft_rtc_fwd_len1960_factors_4_7_2_7_5_wgs_56_tpt_56_halfLds_half_ip_CI_unitstride_sbrr_dirReg
; %bb.0:
	s_clause 0x2
	s_load_dwordx4 s[8:11], s[4:5], 0x0
	s_load_dwordx2 s[2:3], s[4:5], 0x50
	s_load_dwordx2 s[12:13], s[4:5], 0x18
	v_mul_u32_u24_e32 v1, 0x493, v0
	v_mov_b32_e32 v3, 0
	v_add_nc_u32_sdwa v5, s6, v1 dst_sel:DWORD dst_unused:UNUSED_PAD src0_sel:DWORD src1_sel:WORD_1
	v_mov_b32_e32 v1, 0
	v_mov_b32_e32 v6, v3
	v_mov_b32_e32 v2, 0
	s_waitcnt lgkmcnt(0)
	v_cmp_lt_u64_e64 s0, s[10:11], 2
	s_and_b32 vcc_lo, exec_lo, s0
	s_cbranch_vccnz .LBB0_8
; %bb.1:
	s_load_dwordx2 s[0:1], s[4:5], 0x10
	v_mov_b32_e32 v1, 0
	s_add_u32 s6, s12, 8
	v_mov_b32_e32 v2, 0
	s_addc_u32 s7, s13, 0
	s_mov_b64 s[16:17], 1
	s_waitcnt lgkmcnt(0)
	s_add_u32 s14, s0, 8
	s_addc_u32 s15, s1, 0
.LBB0_2:                                ; =>This Inner Loop Header: Depth=1
	s_load_dwordx2 s[18:19], s[14:15], 0x0
                                        ; implicit-def: $vgpr7_vgpr8
	s_mov_b32 s0, exec_lo
	s_waitcnt lgkmcnt(0)
	v_or_b32_e32 v4, s19, v6
	v_cmpx_ne_u64_e32 0, v[3:4]
	s_xor_b32 s1, exec_lo, s0
	s_cbranch_execz .LBB0_4
; %bb.3:                                ;   in Loop: Header=BB0_2 Depth=1
	v_cvt_f32_u32_e32 v4, s18
	v_cvt_f32_u32_e32 v7, s19
	s_sub_u32 s0, 0, s18
	s_subb_u32 s20, 0, s19
	v_fmac_f32_e32 v4, 0x4f800000, v7
	v_rcp_f32_e32 v4, v4
	v_mul_f32_e32 v4, 0x5f7ffffc, v4
	v_mul_f32_e32 v7, 0x2f800000, v4
	v_trunc_f32_e32 v7, v7
	v_fmac_f32_e32 v4, 0xcf800000, v7
	v_cvt_u32_f32_e32 v7, v7
	v_cvt_u32_f32_e32 v4, v4
	v_mul_lo_u32 v8, s0, v7
	v_mul_hi_u32 v9, s0, v4
	v_mul_lo_u32 v10, s20, v4
	v_add_nc_u32_e32 v8, v9, v8
	v_mul_lo_u32 v9, s0, v4
	v_add_nc_u32_e32 v8, v8, v10
	v_mul_hi_u32 v10, v4, v9
	v_mul_lo_u32 v11, v4, v8
	v_mul_hi_u32 v12, v4, v8
	v_mul_hi_u32 v13, v7, v9
	v_mul_lo_u32 v9, v7, v9
	v_mul_hi_u32 v14, v7, v8
	v_mul_lo_u32 v8, v7, v8
	v_add_co_u32 v10, vcc_lo, v10, v11
	v_add_co_ci_u32_e32 v11, vcc_lo, 0, v12, vcc_lo
	v_add_co_u32 v9, vcc_lo, v10, v9
	v_add_co_ci_u32_e32 v9, vcc_lo, v11, v13, vcc_lo
	v_add_co_ci_u32_e32 v10, vcc_lo, 0, v14, vcc_lo
	v_add_co_u32 v8, vcc_lo, v9, v8
	v_add_co_ci_u32_e32 v9, vcc_lo, 0, v10, vcc_lo
	v_add_co_u32 v4, vcc_lo, v4, v8
	v_add_co_ci_u32_e32 v7, vcc_lo, v7, v9, vcc_lo
	v_mul_hi_u32 v8, s0, v4
	v_mul_lo_u32 v10, s20, v4
	v_mul_lo_u32 v9, s0, v7
	v_add_nc_u32_e32 v8, v8, v9
	v_mul_lo_u32 v9, s0, v4
	v_add_nc_u32_e32 v8, v8, v10
	v_mul_hi_u32 v10, v4, v9
	v_mul_lo_u32 v11, v4, v8
	v_mul_hi_u32 v12, v4, v8
	v_mul_hi_u32 v13, v7, v9
	v_mul_lo_u32 v9, v7, v9
	v_mul_hi_u32 v14, v7, v8
	v_mul_lo_u32 v8, v7, v8
	v_add_co_u32 v10, vcc_lo, v10, v11
	v_add_co_ci_u32_e32 v11, vcc_lo, 0, v12, vcc_lo
	v_add_co_u32 v9, vcc_lo, v10, v9
	v_add_co_ci_u32_e32 v9, vcc_lo, v11, v13, vcc_lo
	v_add_co_ci_u32_e32 v10, vcc_lo, 0, v14, vcc_lo
	v_add_co_u32 v8, vcc_lo, v9, v8
	v_add_co_ci_u32_e32 v9, vcc_lo, 0, v10, vcc_lo
	v_add_co_u32 v4, vcc_lo, v4, v8
	v_add_co_ci_u32_e32 v11, vcc_lo, v7, v9, vcc_lo
	v_mul_hi_u32 v13, v5, v4
	v_mad_u64_u32 v[9:10], null, v6, v4, 0
	v_mad_u64_u32 v[7:8], null, v5, v11, 0
	;; [unrolled: 1-line block ×3, first 2 shown]
	v_add_co_u32 v4, vcc_lo, v13, v7
	v_add_co_ci_u32_e32 v7, vcc_lo, 0, v8, vcc_lo
	v_add_co_u32 v4, vcc_lo, v4, v9
	v_add_co_ci_u32_e32 v4, vcc_lo, v7, v10, vcc_lo
	v_add_co_ci_u32_e32 v7, vcc_lo, 0, v12, vcc_lo
	v_add_co_u32 v4, vcc_lo, v4, v11
	v_add_co_ci_u32_e32 v9, vcc_lo, 0, v7, vcc_lo
	v_mul_lo_u32 v10, s19, v4
	v_mad_u64_u32 v[7:8], null, s18, v4, 0
	v_mul_lo_u32 v11, s18, v9
	v_sub_co_u32 v7, vcc_lo, v5, v7
	v_add3_u32 v8, v8, v11, v10
	v_sub_nc_u32_e32 v10, v6, v8
	v_subrev_co_ci_u32_e64 v10, s0, s19, v10, vcc_lo
	v_add_co_u32 v11, s0, v4, 2
	v_add_co_ci_u32_e64 v12, s0, 0, v9, s0
	v_sub_co_u32 v13, s0, v7, s18
	v_sub_co_ci_u32_e32 v8, vcc_lo, v6, v8, vcc_lo
	v_subrev_co_ci_u32_e64 v10, s0, 0, v10, s0
	v_cmp_le_u32_e32 vcc_lo, s18, v13
	v_cmp_eq_u32_e64 s0, s19, v8
	v_cndmask_b32_e64 v13, 0, -1, vcc_lo
	v_cmp_le_u32_e32 vcc_lo, s19, v10
	v_cndmask_b32_e64 v14, 0, -1, vcc_lo
	v_cmp_le_u32_e32 vcc_lo, s18, v7
	;; [unrolled: 2-line block ×3, first 2 shown]
	v_cndmask_b32_e64 v15, 0, -1, vcc_lo
	v_cmp_eq_u32_e32 vcc_lo, s19, v10
	v_cndmask_b32_e64 v7, v15, v7, s0
	v_cndmask_b32_e32 v10, v14, v13, vcc_lo
	v_add_co_u32 v13, vcc_lo, v4, 1
	v_add_co_ci_u32_e32 v14, vcc_lo, 0, v9, vcc_lo
	v_cmp_ne_u32_e32 vcc_lo, 0, v10
	v_cndmask_b32_e32 v8, v14, v12, vcc_lo
	v_cndmask_b32_e32 v10, v13, v11, vcc_lo
	v_cmp_ne_u32_e32 vcc_lo, 0, v7
	v_cndmask_b32_e32 v8, v9, v8, vcc_lo
	v_cndmask_b32_e32 v7, v4, v10, vcc_lo
.LBB0_4:                                ;   in Loop: Header=BB0_2 Depth=1
	s_andn2_saveexec_b32 s0, s1
	s_cbranch_execz .LBB0_6
; %bb.5:                                ;   in Loop: Header=BB0_2 Depth=1
	v_cvt_f32_u32_e32 v4, s18
	s_sub_i32 s1, 0, s18
	v_rcp_iflag_f32_e32 v4, v4
	v_mul_f32_e32 v4, 0x4f7ffffe, v4
	v_cvt_u32_f32_e32 v4, v4
	v_mul_lo_u32 v7, s1, v4
	v_mul_hi_u32 v7, v4, v7
	v_add_nc_u32_e32 v4, v4, v7
	v_mul_hi_u32 v4, v5, v4
	v_mul_lo_u32 v7, v4, s18
	v_add_nc_u32_e32 v8, 1, v4
	v_sub_nc_u32_e32 v7, v5, v7
	v_subrev_nc_u32_e32 v9, s18, v7
	v_cmp_le_u32_e32 vcc_lo, s18, v7
	v_cndmask_b32_e32 v7, v7, v9, vcc_lo
	v_cndmask_b32_e32 v4, v4, v8, vcc_lo
	v_cmp_le_u32_e32 vcc_lo, s18, v7
	v_add_nc_u32_e32 v8, 1, v4
	v_cndmask_b32_e32 v7, v4, v8, vcc_lo
	v_mov_b32_e32 v8, v3
.LBB0_6:                                ;   in Loop: Header=BB0_2 Depth=1
	s_or_b32 exec_lo, exec_lo, s0
	s_load_dwordx2 s[0:1], s[6:7], 0x0
	v_mul_lo_u32 v4, v8, s18
	v_mul_lo_u32 v11, v7, s19
	v_mad_u64_u32 v[9:10], null, v7, s18, 0
	s_add_u32 s16, s16, 1
	s_addc_u32 s17, s17, 0
	s_add_u32 s6, s6, 8
	s_addc_u32 s7, s7, 0
	;; [unrolled: 2-line block ×3, first 2 shown]
	v_add3_u32 v4, v10, v11, v4
	v_sub_co_u32 v5, vcc_lo, v5, v9
	v_sub_co_ci_u32_e32 v4, vcc_lo, v6, v4, vcc_lo
	s_waitcnt lgkmcnt(0)
	v_mul_lo_u32 v6, s1, v5
	v_mul_lo_u32 v4, s0, v4
	v_mad_u64_u32 v[1:2], null, s0, v5, v[1:2]
	v_cmp_ge_u64_e64 s0, s[16:17], s[10:11]
	s_and_b32 vcc_lo, exec_lo, s0
	v_add3_u32 v2, v6, v2, v4
	s_cbranch_vccnz .LBB0_9
; %bb.7:                                ;   in Loop: Header=BB0_2 Depth=1
	v_mov_b32_e32 v5, v7
	v_mov_b32_e32 v6, v8
	s_branch .LBB0_2
.LBB0_8:
	v_mov_b32_e32 v8, v6
	v_mov_b32_e32 v7, v5
.LBB0_9:
	s_lshl_b64 s[0:1], s[10:11], 3
	v_mul_hi_u32 v3, 0x4924925, v0
	s_add_u32 s0, s12, s0
	s_addc_u32 s1, s13, s1
	s_load_dwordx2 s[0:1], s[0:1], 0x0
	s_load_dwordx2 s[4:5], s[4:5], 0x20
	v_mul_u32_u24_e32 v3, 56, v3
	v_sub_nc_u32_e32 v16, v0, v3
	s_waitcnt lgkmcnt(0)
	v_mul_lo_u32 v4, s0, v8
	v_mul_lo_u32 v5, s1, v7
	v_mad_u64_u32 v[1:2], null, s0, v7, v[1:2]
	v_cmp_gt_u64_e32 vcc_lo, s[4:5], v[7:8]
	v_cmp_le_u64_e64 s0, s[4:5], v[7:8]
	v_or_b32_e32 v8, 0x1c0, v16
                                        ; implicit-def: $sgpr4
	v_add3_u32 v2, v5, v2, v4
	s_and_saveexec_b32 s1, s0
	s_xor_b32 s0, exec_lo, s1
; %bb.10:
	v_or_b32_e32 v8, 0x1c0, v16
	s_mov_b32 s4, 0
; %bb.11:
	s_or_saveexec_b32 s1, s0
	v_lshlrev_b64 v[18:19], 2, v[1:2]
	v_mov_b32_e32 v20, s4
	v_mov_b32_e32 v12, s4
	;; [unrolled: 1-line block ×4, first 2 shown]
                                        ; implicit-def: $vgpr0
                                        ; implicit-def: $vgpr42
                                        ; implicit-def: $vgpr1
                                        ; implicit-def: $vgpr52
                                        ; implicit-def: $vgpr4
                                        ; implicit-def: $vgpr65
                                        ; implicit-def: $vgpr6
                                        ; implicit-def: $vgpr68
                                        ; implicit-def: $vgpr2
                                        ; implicit-def: $vgpr41
                                        ; implicit-def: $vgpr5
                                        ; implicit-def: $vgpr50
                                        ; implicit-def: $vgpr14
                                        ; implicit-def: $vgpr66
                                        ; implicit-def: $vgpr7
                                        ; implicit-def: $vgpr69
                                        ; implicit-def: $vgpr3
                                        ; implicit-def: $vgpr43
                                        ; implicit-def: $vgpr15
                                        ; implicit-def: $vgpr51
                                        ; implicit-def: $vgpr31
                                        ; implicit-def: $vgpr64
                                        ; implicit-def: $vgpr73
                                        ; implicit-def: $vgpr67
                                        ; implicit-def: $vgpr13
                                        ; implicit-def: $vgpr25
                                        ; implicit-def: $vgpr21
                                        ; implicit-def: $vgpr47
                                        ; implicit-def: $vgpr34
                                        ; implicit-def: $vgpr59
                                        ; implicit-def: $vgpr70
                                        ; implicit-def: $vgpr63
                                        ; implicit-def: $vgpr22
                                        ; implicit-def: $vgpr24
                                        ; implicit-def: $vgpr27
                                        ; implicit-def: $vgpr45
                                        ; implicit-def: $vgpr33
                                        ; implicit-def: $vgpr57
                                        ; implicit-def: $vgpr72
                                        ; implicit-def: $vgpr62
                                        ; implicit-def: $vgpr29
                                        ; implicit-def: $vgpr23
                                        ; implicit-def: $vgpr32
                                        ; implicit-def: $vgpr44
                                        ; implicit-def: $vgpr36
                                        ; implicit-def: $vgpr53
                                        ; implicit-def: $vgpr71
                                        ; implicit-def: $vgpr60
                                        ; implicit-def: $vgpr28
                                        ; implicit-def: $vgpr11
                                        ; implicit-def: $vgpr30
                                        ; implicit-def: $vgpr40
                                        ; implicit-def: $vgpr38
                                        ; implicit-def: $vgpr48
                                        ; implicit-def: $vgpr74
                                        ; implicit-def: $vgpr54
                                        ; implicit-def: $vgpr35
                                        ; implicit-def: $vgpr9
                                        ; implicit-def: $vgpr37
                                        ; implicit-def: $vgpr26
                                        ; implicit-def: $vgpr39
                                        ; implicit-def: $vgpr46
                                        ; implicit-def: $vgpr75
                                        ; implicit-def: $vgpr49
                                        ; implicit-def: $vgpr10
                                        ; implicit-def: $vgpr58
                                        ; implicit-def: $vgpr61
                                        ; implicit-def: $vgpr55
	s_xor_b32 exec_lo, exec_lo, s1
	s_cbranch_execz .LBB0_15
; %bb.12:
	v_mov_b32_e32 v17, 0
	v_add_co_u32 v2, s0, s2, v18
	v_add_co_ci_u32_e64 v3, s0, s3, v19, s0
	v_lshlrev_b64 v[0:1], 2, v[16:17]
	v_mov_b32_e32 v56, v17
	v_mov_b32_e32 v12, v17
	;; [unrolled: 1-line block ×3, first 2 shown]
	s_mov_b32 s4, exec_lo
                                        ; implicit-def: $vgpr55
                                        ; implicit-def: $vgpr61
                                        ; implicit-def: $vgpr58
                                        ; implicit-def: $vgpr10
	v_add_co_u32 v0, s0, v2, v0
	v_add_co_ci_u32_e64 v1, s0, v3, v1, s0
	v_add_co_u32 v2, s0, 0x800, v0
	v_add_co_ci_u32_e64 v3, s0, 0, v1, s0
	;; [unrolled: 2-line block ×4, first 2 shown]
	s_clause 0x1f
	global_load_dword v42, v[0:1], off
	global_load_dword v41, v[0:1], off offset:224
	global_load_dword v43, v[0:1], off offset:448
	;; [unrolled: 1-line block ×31, first 2 shown]
	v_cmpx_gt_u32_e32 0x1ea, v8
	s_cbranch_execz .LBB0_14
; %bb.13:
	s_clause 0x3
	global_load_dword v12, v[0:1], off offset:1792
	global_load_dword v17, v[2:3], off offset:1704
	;; [unrolled: 1-line block ×4, first 2 shown]
	s_waitcnt vmcnt(3)
	v_lshrrev_b32_e32 v20, 16, v12
	s_waitcnt vmcnt(2)
	v_lshrrev_b32_e32 v56, 16, v17
	;; [unrolled: 2-line block ×4, first 2 shown]
.LBB0_14:
	s_or_b32 exec_lo, exec_lo, s4
	s_waitcnt vmcnt(31)
	v_lshrrev_b32_e32 v0, 16, v42
	s_waitcnt vmcnt(23)
	v_lshrrev_b32_e32 v1, 16, v52
	;; [unrolled: 2-line block ×4, first 2 shown]
	v_lshrrev_b32_e32 v2, 16, v41
	v_lshrrev_b32_e32 v5, 16, v50
	v_lshrrev_b32_e32 v14, 16, v66
	s_waitcnt vmcnt(6)
	v_lshrrev_b32_e32 v7, 16, v69
	v_lshrrev_b32_e32 v3, 16, v43
	v_lshrrev_b32_e32 v15, 16, v51
	v_lshrrev_b32_e32 v31, 16, v64
	s_waitcnt vmcnt(5)
	v_lshrrev_b32_e32 v73, 16, v67
	;; [unrolled: 5-line block ×7, first 2 shown]
.LBB0_15:
	s_or_b32 exec_lo, exec_lo, s1
	v_sub_f16_e32 v76, v42, v65
	v_sub_f16_e32 v65, v52, v68
	;; [unrolled: 1-line block ×5, first 2 shown]
	v_fma_f16 v42, v42, 2.0, -v76
	v_fma_f16 v69, v52, 2.0, -v65
	v_sub_f16_e32 v52, v1, v6
	v_sub_f16_e32 v6, v43, v64
	v_fma_f16 v64, v41, 2.0, -v68
	v_sub_f16_e32 v41, v51, v67
	v_sub_f16_e32 v78, v42, v69
	v_fma_f16 v77, v50, 2.0, -v66
	v_fma_f16 v69, v43, 2.0, -v6
	v_sub_f16_e32 v50, v5, v7
	v_fma_f16 v43, v51, 2.0, -v41
	v_sub_f16_e32 v51, v15, v73
	v_sub_f16_e32 v7, v64, v77
	v_fma_f16 v77, v42, 2.0, -v78
	v_sub_f16_e32 v79, v68, v50
	v_sub_f16_e32 v80, v69, v43
	;; [unrolled: 1-line block ×4, first 2 shown]
	v_fma_f16 v25, v25, 2.0, -v59
	v_sub_f16_e32 v57, v24, v57
	v_fma_f16 v63, v68, 2.0, -v79
	v_fma_f16 v42, v47, 2.0, -v43
	v_sub_f16_e32 v47, v45, v62
	v_fma_f16 v68, v69, 2.0, -v80
	v_fma_f16 v62, v6, 2.0, -v73
	v_sub_f16_e32 v69, v21, v70
	v_sub_f16_e32 v70, v25, v42
	v_fma_f16 v6, v24, 2.0, -v57
	v_fma_f16 v24, v45, 2.0, -v47
	v_sub_f16_e32 v45, v23, v53
	v_sub_f16_e32 v42, v44, v60
	;; [unrolled: 1-line block ×5, first 2 shown]
	v_fma_f16 v23, v23, 2.0, -v45
	v_fma_f16 v24, v44, 2.0, -v42
	v_sub_f16_e32 v44, v40, v54
	v_sub_f16_e32 v54, v32, v71
	v_fma_f16 v85, v6, 2.0, -v72
	v_sub_f16_e32 v6, v11, v48
	v_sub_f16_e32 v86, v23, v24
	;; [unrolled: 1-line block ×5, first 2 shown]
	v_fma_f16 v11, v11, 2.0, -v6
	v_fma_f16 v71, v23, 2.0, -v86
	;; [unrolled: 1-line block ×3, first 2 shown]
	v_sub_f16_e32 v40, v26, v49
	v_sub_f16_e32 v90, v6, v46
	v_fma_f16 v76, v76, 2.0, -v67
	v_fma_f16 v64, v64, 2.0, -v7
	;; [unrolled: 1-line block ×3, first 2 shown]
	v_sub_f16_e32 v88, v45, v54
	v_sub_f16_e32 v74, v11, v23
	v_fma_f16 v9, v9, 2.0, -v24
	v_fma_f16 v23, v26, 2.0, -v40
	v_sub_f16_e32 v48, v37, v75
	v_add_nc_u32_e32 v25, 56, v16
	v_sub_f16_e32 v84, v57, v53
	v_add_nc_u32_e32 v26, 0x70, v16
	v_fma_f16 v83, v59, 2.0, -v81
	v_fma_f16 v93, v6, 2.0, -v90
	v_add_nc_u32_e32 v6, 0xa8, v16
	v_fma_f16 v75, v45, 2.0, -v88
	v_fma_f16 v89, v11, 2.0, -v74
	v_sub_f16_e32 v91, v9, v23
	v_sub_f16_e32 v92, v24, v48
	;; [unrolled: 1-line block ×4, first 2 shown]
	v_lshl_add_u32 v58, v16, 3, 0
	v_pack_b32_f16 v11, v78, v67
	v_pack_b32_f16 v23, v77, v76
	v_lshl_add_u32 v60, v25, 3, 0
	v_pack_b32_f16 v7, v7, v79
	v_pack_b32_f16 v55, v64, v63
	v_fma_f16 v87, v57, 2.0, -v84
	v_sub_f16_e32 v57, v56, v61
	v_lshl_add_u32 v61, v26, 3, 0
	v_pack_b32_f16 v63, v80, v73
	v_pack_b32_f16 v62, v68, v62
	v_lshl_add_u32 v59, v6, 3, 0
	v_pack_b32_f16 v64, v70, v81
	v_pack_b32_f16 v67, v82, v83
	v_fma_f16 v95, v24, 2.0, -v92
	ds_write2_b32 v58, v23, v11 offset1:1
	v_add_nc_u32_e32 v24, 0xe0, v16
	ds_write2_b32 v60, v55, v7 offset1:1
	ds_write2_b32 v61, v62, v63 offset1:1
	;; [unrolled: 1-line block ×3, first 2 shown]
	v_add_nc_u32_e32 v7, 0x118, v16
	v_add_nc_u32_e32 v23, 0x150, v16
	;; [unrolled: 1-line block ×3, first 2 shown]
	v_fma_f16 v94, v9, 2.0, -v91
	v_sub_f16_e32 v9, v49, v57
	v_lshl_add_u32 v62, v24, 3, 0
	v_pack_b32_f16 v55, v72, v84
	v_pack_b32_f16 v70, v85, v87
	v_lshl_add_u32 v63, v7, 3, 0
	v_lshl_add_u32 v67, v23, 3, 0
	;; [unrolled: 1-line block ×3, first 2 shown]
	v_cmp_gt_u32_e64 s0, 42, v16
	v_lshl_add_u32 v64, v8, 3, 0
	v_pack_b32_f16 v72, v86, v88
	v_pack_b32_f16 v71, v71, v75
	;; [unrolled: 1-line block ×6, first 2 shown]
	ds_write2_b32 v62, v70, v55 offset1:1
	ds_write2_b32 v63, v71, v72 offset1:1
	;; [unrolled: 1-line block ×4, first 2 shown]
	s_and_saveexec_b32 s1, s0
	s_cbranch_execz .LBB0_17
; %bb.16:
	v_fma_f16 v12, v12, 2.0, -v49
	v_fma_f16 v17, v17, 2.0, -v45
	;; [unrolled: 1-line block ×3, first 2 shown]
	v_sub_f16_e32 v17, v12, v17
	v_fma_f16 v12, v12, 2.0, -v17
	v_perm_b32 v17, v9, v17, 0x5040100
	v_pack_b32_f16 v12, v12, v49
	ds_write2_b32 v64, v12, v17 offset1:1
.LBB0_17:
	s_or_b32 exec_lo, exec_lo, s1
	v_sub_f16_e32 v4, v0, v4
	v_sub_f16_e32 v12, v2, v14
	v_fma_f16 v1, v1, 2.0, -v52
	v_sub_f16_e32 v14, v3, v31
	v_sub_f16_e32 v17, v13, v34
	v_fma_f16 v0, v0, 2.0, -v4
	v_add_f16_e32 v66, v12, v66
	v_fma_f16 v2, v2, 2.0, -v12
	v_fma_f16 v15, v15, 2.0, -v51
	;; [unrolled: 1-line block ×3, first 2 shown]
	v_sub_f16_e32 v1, v0, v1
	v_add_f16_e32 v72, v14, v41
	v_add_f16_e32 v74, v17, v43
	v_fma_f16 v5, v5, 2.0, -v50
	v_sub_f16_e32 v71, v3, v15
	v_fma_f16 v70, v0, 2.0, -v1
	v_fma_f16 v0, v13, 2.0, -v17
	v_fma_f16 v13, v21, 2.0, -v69
	v_fma_f16 v69, v12, 2.0, -v66
	v_sub_f16_e32 v12, v22, v33
	v_fma_f16 v15, v27, 2.0, -v53
	v_fma_f16 v75, v14, 2.0, -v72
	v_sub_f16_e32 v73, v0, v13
	v_sub_f16_e32 v14, v29, v36
	v_fma_f16 v13, v22, 2.0, -v12
	v_add_f16_e32 v79, v12, v47
	v_fma_f16 v77, v17, 2.0, -v74
	v_fma_f16 v76, v0, 2.0, -v73
	;; [unrolled: 1-line block ×3, first 2 shown]
	v_sub_f16_e32 v78, v13, v15
	v_fma_f16 v15, v32, 2.0, -v54
	v_sub_f16_e32 v17, v28, v38
	v_fma_f16 v81, v12, 2.0, -v79
	;; [unrolled: 2-line block ×4, first 2 shown]
	v_fma_f16 v15, v30, 2.0, -v46
	v_fma_f16 v21, v35, 2.0, -v12
	;; [unrolled: 1-line block ×3, first 2 shown]
	v_add_f16_e32 v87, v17, v44
	v_add_f16_e32 v83, v14, v42
	v_fma_f16 v84, v0, 2.0, -v82
	v_sub_f16_e32 v85, v13, v15
	v_sub_f16_e32 v88, v21, v22
	v_add_f16_e32 v89, v12, v40
	v_sub_f16_e32 v0, v20, v10
	v_fma_f16 v91, v17, 2.0, -v87
	v_lshl_add_u32 v17, v16, 1, 0
	v_fma_f16 v86, v14, 2.0, -v83
	v_fma_f16 v90, v13, 2.0, -v85
	;; [unrolled: 1-line block ×4, first 2 shown]
	v_add_f16_e32 v10, v0, v45
	s_waitcnt lgkmcnt(0)
	s_barrier
	buffer_gl0_inv
	ds_read_u16 v27, v17 offset:3472
	ds_read_u16 v39, v17 offset:672
	;; [unrolled: 1-line block ×3, first 2 shown]
	ds_read_u16 v12, v17
	ds_read_u16 v13, v17 offset:112
	ds_read_u16 v14, v17 offset:224
	;; [unrolled: 1-line block ×31, first 2 shown]
	v_add_f16_e32 v65, v4, v65
	v_sub_f16_e32 v5, v2, v5
	v_fma_f16 v3, v3, 2.0, -v71
	s_waitcnt lgkmcnt(0)
	s_barrier
	v_fma_f16 v4, v4, 2.0, -v65
	v_fma_f16 v2, v2, 2.0, -v5
	v_pack_b32_f16 v1, v1, v65
	v_pack_b32_f16 v5, v5, v66
	;; [unrolled: 1-line block ×6, first 2 shown]
	buffer_gl0_inv
	ds_write2_b32 v58, v4, v1 offset1:1
	ds_write2_b32 v60, v2, v5 offset1:1
	;; [unrolled: 1-line block ×3, first 2 shown]
	v_pack_b32_f16 v1, v76, v77
	v_pack_b32_f16 v2, v73, v74
	;; [unrolled: 1-line block ×10, first 2 shown]
	ds_write2_b32 v59, v1, v2 offset1:1
	ds_write2_b32 v62, v3, v4 offset1:1
	;; [unrolled: 1-line block ×5, first 2 shown]
	s_and_saveexec_b32 s1, s0
	s_cbranch_execz .LBB0_19
; %bb.18:
	v_fma_f16 v1, v20, 2.0, -v0
	v_fma_f16 v2, v56, 2.0, -v57
	;; [unrolled: 1-line block ×3, first 2 shown]
	v_sub_f16_e32 v2, v1, v2
	v_fma_f16 v1, v1, 2.0, -v2
	v_perm_b32 v2, v10, v2, 0x5040100
	v_pack_b32_f16 v0, v1, v0
	ds_write2_b32 v64, v0, v2 offset1:1
.LBB0_19:
	s_or_b32 exec_lo, exec_lo, s1
	v_and_b32_e32 v20, 3, v16
	s_waitcnt lgkmcnt(0)
	s_barrier
	buffer_gl0_inv
	v_lshrrev_b32_e32 v56, 2, v16
	v_mul_u32_u24_e32 v0, 6, v20
	v_lshrrev_b32_e32 v57, 2, v25
	v_lshrrev_b32_e32 v87, 2, v26
	v_cmp_gt_u32_e64 s0, 28, v16
	v_mul_u32_u24_e32 v56, 28, v56
	v_lshlrev_b32_e32 v4, 2, v0
	v_mul_u32_u24_e32 v57, 28, v57
	v_mul_u32_u24_e32 v125, 28, v87
	s_clause 0x1
	global_load_dwordx4 v[0:3], v4, s[8:9]
	global_load_dwordx2 v[4:5], v4, s[8:9] offset:16
	ds_read_u16 v68, v17 offset:3472
	ds_read_u16 v80, v17 offset:560
	;; [unrolled: 1-line block ×30, first 2 shown]
	v_or_b32_e32 v56, v56, v20
	v_or_b32_e32 v87, v57, v20
	ds_read_u16 v103, v17
	ds_read_u16 v96, v17 offset:112
	ds_read_u16 v89, v17 offset:224
	ds_read_u16 v79, v17 offset:448
	ds_read_u16 v86, v17 offset:336
	s_waitcnt vmcnt(0) lgkmcnt(0)
	v_lshl_add_u32 v57, v56, 1, 0
	v_lshl_add_u32 v56, v87, 1, 0
	s_barrier
	buffer_gl0_inv
	v_mul_f16_sdwa v116, v80, v0 dst_sel:DWORD dst_unused:UNUSED_PAD src0_sel:DWORD src1_sel:WORD_1
	v_mul_f16_sdwa v111, v54, v0 dst_sel:DWORD dst_unused:UNUSED_PAD src0_sel:DWORD src1_sel:WORD_1
	;; [unrolled: 1-line block ×52, first 2 shown]
	v_fma_f16 v116, v54, v0, -v116
	v_mul_f16_sdwa v146, v64, v2 dst_sel:DWORD dst_unused:UNUSED_PAD src0_sel:DWORD src1_sel:WORD_1
	v_fmac_f16_e32 v111, v80, v0
	v_mul_f16_sdwa v54, v35, v2 dst_sel:DWORD dst_unused:UNUSED_PAD src0_sel:DWORD src1_sel:WORD_1
	v_fma_f16 v117, v55, v1, -v117
	v_mul_f16_sdwa v147, v67, v3 dst_sel:DWORD dst_unused:UNUSED_PAD src0_sel:DWORD src1_sel:WORD_1
	v_fmac_f16_e32 v112, v85, v1
	v_mul_f16_sdwa v55, v38, v3 dst_sel:DWORD dst_unused:UNUSED_PAD src0_sel:DWORD src1_sel:WORD_1
	;; [unrolled: 4-line block ×4, first 2 shown]
	v_fma_f16 v120, v53, v4, -v120
	v_fmac_f16_e32 v114, v84, v4
	v_fma_f16 v121, v50, v5, -v121
	v_fmac_f16_e32 v115, v81, v5
	;; [unrolled: 2-line block ×26, first 2 shown]
	v_add_f16_e32 v0, v116, v121
	v_sub_f16_e32 v1, v111, v115
	v_add_f16_e32 v2, v117, v120
	v_sub_f16_e32 v3, v112, v114
	v_add_f16_e32 v4, v118, v119
	v_sub_f16_e32 v5, v113, v110
	v_add_f16_e32 v22, v82, v78
	v_add_f16_e32 v28, v81, v85
	;; [unrolled: 1-line block ×5, first 2 shown]
	v_sub_f16_e32 v62, v2, v0
	v_sub_f16_e32 v0, v0, v4
	v_sub_f16_e32 v2, v4, v2
	v_add_f16_e32 v64, v5, v3
	v_sub_f16_e32 v66, v5, v3
	v_sub_f16_e32 v3, v3, v1
	;; [unrolled: 1-line block ×4, first 2 shown]
	v_add_f16_e32 v30, v83, v84
	v_sub_f16_e32 v31, v107, v104
	v_add_f16_e32 v34, v76, v77
	v_add_f16_e32 v38, v69, v65
	;; [unrolled: 1-line block ×3, first 2 shown]
	v_sub_f16_e32 v5, v1, v5
	v_add_f16_e32 v67, v28, v22
	v_add_f16_e32 v126, v33, v32
	;; [unrolled: 1-line block ×4, first 2 shown]
	v_mul_f16_e32 v0, 0x3a52, v0
	v_mul_f16_e32 v51, 0x2b26, v2
	;; [unrolled: 1-line block ×4, first 2 shown]
	v_add_f16_e32 v40, v70, v71
	v_sub_f16_e32 v41, v92, v94
	v_sub_f16_e32 v42, v93, v90
	;; [unrolled: 1-line block ×6, first 2 shown]
	v_add_f16_e32 v123, v31, v29
	v_sub_f16_e32 v124, v31, v29
	v_sub_f16_e32 v29, v29, v27
	;; [unrolled: 1-line block ×5, first 2 shown]
	v_add_f16_e32 v130, v39, v38
	v_add_f16_e32 v30, v30, v67
	;; [unrolled: 1-line block ×3, first 2 shown]
	v_fmamk_f16 v2, v2, 0x2b26, v0
	v_fma_f16 v51, v62, 0x39e0, -v51
	v_fma_f16 v0, v62, 0xb9e0, -v0
	;; [unrolled: 1-line block ×3, first 2 shown]
	v_fmamk_f16 v62, v5, 0x3574, v64
	v_fma_f16 v5, v5, 0xb574, -v66
	v_add_f16_e32 v12, v12, v4
	v_sub_f16_e32 v31, v27, v31
	v_sub_f16_e32 v131, v39, v38
	;; [unrolled: 1-line block ×4, first 2 shown]
	v_add_f16_e32 v132, v42, v41
	v_sub_f16_e32 v133, v42, v41
	v_sub_f16_e32 v41, v41, v43
	v_add_f16_e32 v27, v123, v27
	v_add_f16_e32 v40, v40, v130
	v_mul_f16_e32 v22, 0x3a52, v22
	v_mul_f16_e32 v67, 0x2b26, v28
	;; [unrolled: 1-line block ×4, first 2 shown]
	v_add_f16_e32 v13, v13, v30
	v_add_f16_e32 v14, v14, v34
	v_fmac_f16_e32 v62, 0x370e, v1
	v_fmac_f16_e32 v3, 0x370e, v1
	;; [unrolled: 1-line block ×3, first 2 shown]
	v_fmamk_f16 v1, v4, 0xbcab, v12
	v_add_f16_e32 v44, v53, v61
	v_add_f16_e32 v45, v50, v60
	v_sub_f16_e32 v42, v43, v42
	v_add_f16_e32 v43, v132, v43
	v_mul_f16_e32 v132, 0xb846, v133
	v_mul_f16_e32 v133, 0x3b00, v41
	v_fmamk_f16 v28, v28, 0x2b26, v22
	v_fma_f16 v64, v122, 0x39e0, -v67
	v_fma_f16 v22, v122, 0xb9e0, -v22
	;; [unrolled: 1-line block ×3, first 2 shown]
	v_fmamk_f16 v66, v31, 0x3574, v123
	v_fma_f16 v31, v31, 0xb574, -v124
	v_add_f16_e32 v15, v15, v40
	ds_write_b16 v57, v12
	v_fmamk_f16 v4, v30, 0xbcab, v13
	v_fmamk_f16 v12, v34, 0xbcab, v14
	v_add_f16_e32 v2, v2, v1
	v_add_f16_e32 v34, v51, v1
	;; [unrolled: 1-line block ×3, first 2 shown]
	v_sub_f16_e32 v35, v99, v101
	v_sub_f16_e32 v36, v100, v97
	;; [unrolled: 1-line block ×3, first 2 shown]
	v_add_f16_e32 v46, v58, v59
	v_sub_f16_e32 v47, v88, v80
	v_sub_f16_e32 v48, v55, v54
	;; [unrolled: 1-line block ×3, first 2 shown]
	v_add_f16_e32 v134, v45, v44
	v_fma_f16 v41, v41, 0x3b00, -v132
	v_fmamk_f16 v124, v42, 0x3574, v132
	v_fma_f16 v42, v42, 0xb574, -v133
	v_fmac_f16_e32 v66, 0x370e, v27
	v_fmac_f16_e32 v29, 0x370e, v27
	;; [unrolled: 1-line block ×3, first 2 shown]
	v_fmamk_f16 v27, v40, 0xbcab, v15
	v_add_f16_e32 v1, v28, v4
	v_add_f16_e32 v28, v64, v4
	v_add_f16_e32 v4, v22, v4
	v_sub_f16_e32 v40, v34, v3
	v_add_f16_e32 v3, v3, v34
	v_add_f16_e32 v34, v5, v0
	v_sub_f16_e32 v0, v0, v5
	v_add_f16_e32 v5, v62, v2
	v_add_f16_e32 v128, v36, v35
	v_sub_f16_e32 v129, v36, v35
	v_sub_f16_e32 v35, v35, v37
	;; [unrolled: 1-line block ×6, first 2 shown]
	v_add_f16_e32 v136, v48, v47
	v_sub_f16_e32 v137, v48, v47
	v_sub_f16_e32 v47, v47, v49
	v_add_f16_e32 v46, v46, v134
	v_fmac_f16_e32 v124, 0x370e, v43
	v_fmac_f16_e32 v41, 0x370e, v43
	;; [unrolled: 1-line block ×3, first 2 shown]
	v_sub_f16_e32 v43, v28, v29
	v_add_f16_e32 v28, v29, v28
	v_add_f16_e32 v29, v31, v4
	v_sub_f16_e32 v4, v4, v31
	v_add_f16_e32 v31, v66, v1
	ds_write_b16 v57, v5 offset:8
	ds_write_b16 v57, v34 offset:16
	;; [unrolled: 1-line block ×6, first 2 shown]
	ds_write_b16 v56, v13
	ds_write_b16 v56, v31 offset:8
	v_or_b32_e32 v0, v125, v20
	v_lshrrev_b32_e32 v2, 2, v6
	v_sub_f16_e32 v36, v37, v36
	v_add_f16_e32 v37, v128, v37
	v_mul_f16_e32 v32, 0x3a52, v32
	v_mul_f16_e32 v126, 0x2b26, v33
	v_mul_f16_e32 v128, 0xb846, v129
	v_mul_f16_e32 v129, 0x3b00, v35
	v_mul_f16_e32 v130, 0x2b26, v39
	v_mul_f16_e32 v38, 0x3a52, v38
	v_sub_f16_e32 v48, v49, v48
	v_add_f16_e32 v49, v136, v49
	v_mul_f16_e32 v44, 0x3a52, v44
	v_mul_f16_e32 v134, 0x2b26, v45
	;; [unrolled: 1-line block ×4, first 2 shown]
	v_add_f16_e32 v21, v21, v46
	v_lshl_add_u32 v62, v0, 1, 0
	v_mul_u32_u24_e32 v0, 28, v2
	v_lshrrev_b32_e32 v2, 2, v24
	v_fmamk_f16 v33, v33, 0x2b26, v32
	v_fma_f16 v67, v127, 0x39e0, -v126
	v_fma_f16 v32, v127, 0xb9e0, -v32
	;; [unrolled: 1-line block ×3, first 2 shown]
	v_fmamk_f16 v122, v36, 0x3574, v128
	v_fma_f16 v36, v36, 0xb574, -v129
	v_fma_f16 v123, v131, 0x39e0, -v130
	v_fmamk_f16 v39, v39, 0x2b26, v38
	v_fma_f16 v38, v131, 0xb9e0, -v38
	v_fmamk_f16 v45, v45, 0x2b26, v44
	v_fma_f16 v126, v135, 0x39e0, -v134
	v_fma_f16 v44, v135, 0xb9e0, -v44
	;; [unrolled: 1-line block ×3, first 2 shown]
	v_fmamk_f16 v127, v48, 0x3574, v136
	v_fma_f16 v48, v48, 0xb574, -v137
	v_fmamk_f16 v30, v46, 0xbcab, v21
	v_or_b32_e32 v0, v0, v20
	v_mul_u32_u24_e32 v2, 28, v2
	v_fmac_f16_e32 v122, 0x370e, v37
	v_fmac_f16_e32 v35, 0x370e, v37
	;; [unrolled: 1-line block ×3, first 2 shown]
	v_add_f16_e32 v22, v33, v12
	v_add_f16_e32 v33, v67, v12
	;; [unrolled: 1-line block ×6, first 2 shown]
	v_fmac_f16_e32 v127, 0x370e, v49
	v_fmac_f16_e32 v47, 0x370e, v49
	;; [unrolled: 1-line block ×3, first 2 shown]
	v_add_f16_e32 v38, v45, v30
	v_add_f16_e32 v39, v126, v30
	;; [unrolled: 1-line block ×3, first 2 shown]
	v_lshl_add_u32 v64, v0, 1, 0
	v_or_b32_e32 v0, v2, v20
	v_sub_f16_e32 v45, v33, v35
	v_add_f16_e32 v33, v35, v33
	v_add_f16_e32 v35, v36, v12
	v_sub_f16_e32 v12, v12, v36
	v_add_f16_e32 v36, v122, v22
	v_sub_f16_e32 v22, v22, v122
	v_sub_f16_e32 v46, v37, v41
	;; [unrolled: 1-line block ×3, first 2 shown]
	v_add_f16_e32 v37, v41, v37
	v_add_f16_e32 v41, v42, v27
	v_sub_f16_e32 v27, v27, v42
	v_add_f16_e32 v42, v124, v32
	v_sub_f16_e32 v32, v32, v124
	v_sub_f16_e32 v49, v39, v47
	v_add_f16_e32 v39, v47, v39
	v_add_f16_e32 v47, v48, v30
	v_sub_f16_e32 v30, v30, v48
	v_add_f16_e32 v48, v127, v38
	v_lshl_add_u32 v20, v0, 1, 0
	v_sub_f16_e32 v1, v38, v127
	ds_write_b16 v56, v29 offset:16
	ds_write_b16 v56, v43 offset:24
	ds_write_b16 v56, v28 offset:32
	ds_write_b16 v56, v4 offset:40
	ds_write_b16 v56, v44 offset:48
	ds_write_b16 v62, v14
	ds_write_b16 v62, v36 offset:8
	ds_write_b16 v62, v35 offset:16
	ds_write_b16 v62, v45 offset:24
	ds_write_b16 v62, v33 offset:32
	ds_write_b16 v62, v12 offset:40
	ds_write_b16 v62, v22 offset:48
	ds_write_b16 v64, v15
	ds_write_b16 v64, v42 offset:8
	;; [unrolled: 7-line block ×3, first 2 shown]
	ds_write_b16 v20, v47 offset:16
	ds_write_b16 v20, v49 offset:24
	;; [unrolled: 1-line block ×5, first 2 shown]
	s_waitcnt lgkmcnt(0)
	s_barrier
	buffer_gl0_inv
	ds_read_u16 v41, v17
	ds_read_u16 v34, v17 offset:112
	ds_read_u16 v35, v17 offset:224
	;; [unrolled: 1-line block ×15, first 2 shown]
	v_lshl_add_u32 v0, v8, 1, 0
	ds_read_u16 v21, v17 offset:2856
	ds_read_u16 v15, v17 offset:2968
	ds_read_u16 v14, v17 offset:3080
	ds_read_u16 v13, v17 offset:3192
	ds_read_u16 v12, v17 offset:3304
	ds_read_u16 v5, v17 offset:3416
	ds_read_u16 v3, v17 offset:3528
	ds_read_u16 v2, v17 offset:3640
	ds_read_u16 v42, v17 offset:1008
	ds_read_u16 v43, v17 offset:1120
	ds_read_u16 v44, v17 offset:1232
	ds_read_u16 v45, v17 offset:1344
	ds_read_u16 v46, v17 offset:1456
	ds_read_u16 v47, v17 offset:1568
	ds_read_u16 v48, v17 offset:1680
	ds_read_u16 v49, v17 offset:1792
	ds_read_u16 v51, v0
	ds_read_u16 v4, v17 offset:3752
	s_and_saveexec_b32 s1, s0
	s_cbranch_execz .LBB0_21
; %bb.20:
	ds_read_u16 v1, v17 offset:1904
	ds_read_u16 v9, v17 offset:3864
.LBB0_21:
	s_or_b32 exec_lo, exec_lo, s1
	v_add_f16_e32 v66, v111, v115
	v_add_f16_e32 v67, v112, v114
	;; [unrolled: 1-line block ×11, first 2 shown]
	v_sub_f16_e32 v112, v117, v120
	v_sub_f16_e32 v113, v119, v118
	v_add_f16_e32 v114, v67, v66
	v_sub_f16_e32 v111, v116, v121
	v_sub_f16_e32 v78, v82, v78
	v_add_f16_e32 v82, v104, v107
	v_sub_f16_e32 v81, v81, v85
	v_sub_f16_e32 v83, v84, v83
	v_add_f16_e32 v84, v106, v105
	v_sub_f16_e32 v73, v75, v73
	v_add_f16_e32 v75, v97, v100
	v_sub_f16_e32 v72, v74, v72
	v_sub_f16_e32 v74, v77, v76
	v_add_f16_e32 v76, v99, v98
	v_sub_f16_e32 v65, v69, v65
	v_add_f16_e32 v69, v90, v93
	v_sub_f16_e32 v63, v68, v63
	v_sub_f16_e32 v68, v71, v70
	v_add_f16_e32 v70, v92, v91
	;; [unrolled: 5-line block ×3, first 2 shown]
	v_sub_f16_e32 v115, v67, v66
	v_sub_f16_e32 v66, v66, v110
	v_sub_f16_e32 v67, v110, v67
	v_add_f16_e32 v116, v113, v112
	v_add_f16_e32 v110, v110, v114
	v_sub_f16_e32 v114, v113, v112
	v_sub_f16_e32 v112, v112, v111
	v_sub_f16_e32 v85, v106, v105
	v_sub_f16_e32 v104, v105, v82
	v_sub_f16_e32 v105, v82, v106
	v_add_f16_e32 v106, v83, v81
	v_add_f16_e32 v82, v82, v84
	v_sub_f16_e32 v84, v83, v81
	v_sub_f16_e32 v81, v81, v78
	;; [unrolled: 7-line block ×5, first 2 shown]
	v_sub_f16_e32 v113, v111, v113
	v_add_f16_e32 v111, v116, v111
	v_add_f16_e32 v103, v103, v110
	v_mul_f16_e32 v66, 0x3a52, v66
	v_mul_f16_e32 v116, 0x2b26, v67
	v_mul_f16_e32 v114, 0xb846, v114
	v_mul_f16_e32 v117, 0x3b00, v112
	v_sub_f16_e32 v83, v78, v83
	v_add_f16_e32 v78, v106, v78
	v_add_f16_e32 v96, v96, v82
	v_mul_f16_e32 v104, 0x3a52, v104
	v_mul_f16_e32 v106, 0x2b26, v105
	v_mul_f16_e32 v84, 0xb846, v84
	v_mul_f16_e32 v107, 0x3b00, v81
	;; [unrolled: 7-line block ×5, first 2 shown]
	v_fmamk_f16 v110, v110, 0xbcab, v103
	v_fmamk_f16 v67, v67, 0x2b26, v66
	v_fma_f16 v116, v115, 0x39e0, -v116
	v_fma_f16 v66, v115, 0xb9e0, -v66
	v_fmamk_f16 v115, v113, 0x3574, v114
	v_fma_f16 v113, v113, 0xb574, -v117
	v_fma_f16 v112, v112, 0x3b00, -v114
	v_fmamk_f16 v82, v82, 0xbcab, v96
	v_fmamk_f16 v105, v105, 0x2b26, v104
	v_fma_f16 v106, v85, 0x39e0, -v106
	v_fma_f16 v85, v85, 0xb9e0, -v104
	v_fmamk_f16 v104, v83, 0x3574, v84
	v_fma_f16 v81, v81, 0x3b00, -v84
	v_fma_f16 v83, v83, 0xb574, -v107
	;; [unrolled: 7-line block ×5, first 2 shown]
	v_add_f16_e32 v67, v67, v110
	v_fmac_f16_e32 v115, 0x370e, v111
	v_add_f16_e32 v66, v66, v110
	v_fmac_f16_e32 v113, 0x370e, v111
	;; [unrolled: 2-line block ×3, first 2 shown]
	v_add_f16_e32 v84, v105, v82
	v_add_f16_e32 v105, v106, v82
	v_add_f16_e32 v82, v85, v82
	v_fmac_f16_e32 v104, 0x370e, v78
	v_fmac_f16_e32 v83, 0x370e, v78
	v_fmac_f16_e32 v81, 0x370e, v78
	v_add_f16_e32 v76, v98, v75
	v_add_f16_e32 v98, v99, v75
	v_add_f16_e32 v75, v77, v75
	v_fmac_f16_e32 v97, 0x370e, v73
	v_fmac_f16_e32 v74, 0x370e, v73
	v_fmac_f16_e32 v72, 0x370e, v73
	;; [unrolled: 6-line block ×4, first 2 shown]
	v_sub_f16_e32 v110, v67, v115
	v_sub_f16_e32 v111, v66, v113
	v_add_f16_e32 v116, v112, v114
	v_sub_f16_e32 v112, v114, v112
	v_add_f16_e32 v66, v113, v66
	v_add_f16_e32 v67, v115, v67
	v_sub_f16_e32 v78, v84, v104
	v_sub_f16_e32 v85, v82, v83
	v_add_f16_e32 v106, v81, v105
	v_sub_f16_e32 v81, v105, v81
	v_add_f16_e32 v73, v83, v82
	v_add_f16_e32 v77, v104, v84
	;; [unrolled: 6-line block ×5, first 2 shown]
	s_waitcnt lgkmcnt(0)
	s_barrier
	buffer_gl0_inv
	ds_write_b16 v57, v103
	ds_write_b16 v57, v110 offset:8
	ds_write_b16 v57, v111 offset:16
	ds_write_b16 v57, v116 offset:24
	ds_write_b16 v57, v112 offset:32
	ds_write_b16 v57, v66 offset:40
	ds_write_b16 v57, v67 offset:48
	ds_write_b16 v56, v96
	ds_write_b16 v56, v78 offset:8
	ds_write_b16 v56, v85 offset:16
	ds_write_b16 v56, v106 offset:24
	ds_write_b16 v56, v81 offset:32
	ds_write_b16 v56, v73 offset:40
	ds_write_b16 v56, v77 offset:48
	;; [unrolled: 7-line block ×5, first 2 shown]
	s_waitcnt lgkmcnt(0)
	s_barrier
	buffer_gl0_inv
	ds_read_u16 v58, v17
	ds_read_u16 v59, v17 offset:112
	ds_read_u16 v53, v17 offset:224
	;; [unrolled: 1-line block ×31, first 2 shown]
	ds_read_u16 v68, v0
	ds_read_u16 v74, v17 offset:3752
	s_and_saveexec_b32 s1, s0
	s_cbranch_execz .LBB0_23
; %bb.22:
	ds_read_u16 v50, v17 offset:1904
	ds_read_u16 v10, v17 offset:3864
.LBB0_23:
	s_or_b32 exec_lo, exec_lo, s1
	v_lshrrev_b16 v88, 2, v26
	v_lshrrev_b16 v86, 2, v25
	;; [unrolled: 1-line block ×3, first 2 shown]
	v_subrev_nc_u32_e32 v87, 28, v16
	v_lshrrev_b16 v92, 2, v24
	v_and_b32_e32 v88, 63, v88
	v_and_b32_e32 v86, 63, v86
	v_mov_b32_e32 v103, 0x4925
	v_and_b32_e32 v91, 63, v91
	v_mov_b32_e32 v90, 0
	v_mul_lo_u16 v88, v88, 37
	v_mul_lo_u16 v86, v86, 37
	v_lshrrev_b16 v93, 2, v7
	v_lshrrev_b16 v95, 2, v23
	v_cndmask_b32_e64 v89, v87, v16, s0
	v_mul_u32_u24_sdwa v92, v92, v103 dst_sel:DWORD dst_unused:UNUSED_PAD src0_sel:WORD_0 src1_sel:DWORD
	v_mul_lo_u16 v91, v91, 37
	v_lshrrev_b16 v105, 8, v88
	v_lshrrev_b16 v104, 8, v86
	v_lshlrev_b64 v[86:87], 2, v[89:90]
	v_mul_u32_u24_sdwa v90, v93, v103 dst_sel:DWORD dst_unused:UNUSED_PAD src0_sel:WORD_0 src1_sel:DWORD
	v_lshrrev_b16 v107, 8, v91
	v_mul_lo_u16 v88, v105, 28
	v_lshrrev_b32_e32 v108, 17, v92
	v_mul_u32_u24_sdwa v91, v95, v103 dst_sel:DWORD dst_unused:UNUSED_PAD src0_sel:WORD_0 src1_sel:DWORD
	v_lshrrev_b32_e32 v110, 17, v90
	v_add_nc_u16 v100, v16, 0x230
	v_sub_nc_u16 v109, v26, v88
	v_mul_lo_u16 v88, v107, 28
	v_mul_lo_u16 v90, v108, 28
	v_lshrrev_b32_e32 v111, 17, v91
	v_mul_lo_u16 v91, v110, 28
	v_add_nc_u16 v102, v16, 0x268
	v_sub_nc_u16 v112, v6, v88
	v_sub_nc_u16 v113, v24, v90
	v_mul_lo_u16 v88, v111, 28
	v_lshrrev_b16 v90, 2, v11
	v_sub_nc_u16 v114, v7, v91
	v_add_nc_u16 v99, v16, 0x1f8
	v_lshrrev_b16 v91, 2, v100
	v_sub_nc_u16 v115, v23, v88
	v_mul_u32_u24_sdwa v88, v90, v103 dst_sel:DWORD dst_unused:UNUSED_PAD src0_sel:WORD_0 src1_sel:DWORD
	v_lshrrev_b16 v117, 2, v102
	v_mul_lo_u16 v96, v104, 28
	v_lshrrev_b16 v90, 2, v99
	v_mul_u32_u24_sdwa v91, v91, v103 dst_sel:DWORD dst_unused:UNUSED_PAD src0_sel:WORD_0 src1_sel:DWORD
	v_lshrrev_b32_e32 v116, 17, v88
	v_lshrrev_b16 v88, 2, v8
	v_mov_b32_e32 v94, 2
	v_sub_nc_u16 v106, v25, v96
	v_add_co_u32 v86, s1, s8, v86
	v_mul_lo_u16 v92, v116, 28
	v_mul_u32_u24_sdwa v88, v88, v103 dst_sel:DWORD dst_unused:UNUSED_PAD src0_sel:WORD_0 src1_sel:DWORD
	v_add_co_ci_u32_e64 v87, s1, s9, v87, s1
	v_mul_u32_u24_sdwa v90, v90, v103 dst_sel:DWORD dst_unused:UNUSED_PAD src0_sel:WORD_0 src1_sel:DWORD
	v_sub_nc_u16 v118, v11, v92
	v_lshrrev_b32_e32 v119, 17, v88
	v_mul_u32_u24_sdwa v11, v117, v103 dst_sel:DWORD dst_unused:UNUSED_PAD src0_sel:WORD_0 src1_sel:DWORD
	v_lshrrev_b32_e32 v121, 17, v91
	v_lshlrev_b32_sdwa v93, v94, v106 dst_sel:DWORD dst_unused:UNUSED_PAD src0_sel:DWORD src1_sel:BYTE_0
	v_lshlrev_b32_sdwa v95, v94, v109 dst_sel:DWORD dst_unused:UNUSED_PAD src0_sel:DWORD src1_sel:BYTE_0
	v_mul_lo_u16 v117, v119, 28
	v_lshrrev_b32_e32 v124, 17, v11
	v_lshlrev_b32_sdwa v96, v94, v112 dst_sel:DWORD dst_unused:UNUSED_PAD src0_sel:DWORD src1_sel:BYTE_0
	v_lshlrev_b32_sdwa v97, v94, v113 dst_sel:DWORD dst_unused:UNUSED_PAD src0_sel:DWORD src1_sel:WORD_0
	v_lshlrev_b32_sdwa v88, v94, v118 dst_sel:DWORD dst_unused:UNUSED_PAD src0_sel:DWORD src1_sel:WORD_0
	;; [unrolled: 1-line block ×4, first 2 shown]
	v_lshrrev_b32_e32 v120, 17, v90
	v_mul_lo_u16 v123, v121, 28
	s_clause 0x7
	global_load_dword v91, v[86:87], off offset:96
	global_load_dword v92, v93, s[8:9] offset:96
	global_load_dword v93, v95, s[8:9] offset:96
	;; [unrolled: 1-line block ×7, first 2 shown]
	v_sub_nc_u16 v117, v8, v117
	v_mul_lo_u16 v8, v124, 28
	v_add_nc_u16 v95, v16, 0x2a0
	v_sub_nc_u16 v123, v100, v123
	v_add_nc_u16 v98, v16, 0x2d8
	v_add_nc_u16 v100, v16, 0x310
	v_sub_nc_u16 v125, v102, v8
	v_lshrrev_b16 v8, 2, v95
	v_or_b32_e32 v20, 0x380, v16
	v_add_nc_u16 v101, v16, 0x348
	v_lshrrev_b16 v102, 2, v98
	v_lshrrev_b16 v127, 2, v100
	v_mul_u32_u24_sdwa v8, v8, v103 dst_sel:DWORD dst_unused:UNUSED_PAD src0_sel:WORD_0 src1_sel:DWORD
	v_lshrrev_b16 v129, 2, v20
	v_lshrrev_b16 v128, 2, v101
	v_mul_lo_u16 v122, v120, 28
	v_lshlrev_b32_sdwa v96, v94, v117 dst_sel:DWORD dst_unused:UNUSED_PAD src0_sel:DWORD src1_sel:WORD_0
	v_lshrrev_b32_e32 v130, 17, v8
	v_mul_u32_u24_sdwa v8, v102, v103 dst_sel:DWORD dst_unused:UNUSED_PAD src0_sel:WORD_0 src1_sel:DWORD
	v_mul_u32_u24_sdwa v102, v127, v103 dst_sel:DWORD dst_unused:UNUSED_PAD src0_sel:WORD_0 src1_sel:DWORD
	;; [unrolled: 1-line block ×4, first 2 shown]
	v_mul_lo_u16 v129, v130, 28
	v_lshrrev_b32_e32 v131, 17, v8
	v_lshrrev_b32_e32 v132, 17, v102
	;; [unrolled: 1-line block ×4, first 2 shown]
	v_sub_nc_u16 v129, v95, v129
	v_mul_lo_u16 v8, v131, 28
	v_mul_lo_u16 v95, v132, 28
	v_sub_nc_u16 v122, v99, v122
	v_mul_lo_u16 v133, v127, 28
	v_mul_lo_u16 v134, v128, 28
	v_sub_nc_u16 v135, v98, v8
	v_sub_nc_u16 v136, v100, v95
	v_lshlrev_b32_sdwa v97, v94, v122 dst_sel:DWORD dst_unused:UNUSED_PAD src0_sel:DWORD src1_sel:WORD_0
	v_sub_nc_u16 v133, v101, v133
	v_sub_nc_u16 v134, v20, v134
	v_lshlrev_b32_sdwa v99, v94, v123 dst_sel:DWORD dst_unused:UNUSED_PAD src0_sel:DWORD src1_sel:WORD_0
	v_lshlrev_b32_sdwa v126, v94, v125 dst_sel:DWORD dst_unused:UNUSED_PAD src0_sel:DWORD src1_sel:WORD_0
	v_lshlrev_b32_sdwa v8, v94, v129 dst_sel:DWORD dst_unused:UNUSED_PAD src0_sel:DWORD src1_sel:WORD_0
	global_load_dword v102, v96, s[8:9] offset:96
	v_lshlrev_b32_sdwa v95, v94, v135 dst_sel:DWORD dst_unused:UNUSED_PAD src0_sel:DWORD src1_sel:WORD_0
	v_lshlrev_b32_sdwa v96, v94, v136 dst_sel:DWORD dst_unused:UNUSED_PAD src0_sel:DWORD src1_sel:WORD_0
	;; [unrolled: 1-line block ×4, first 2 shown]
	s_clause 0x7
	global_load_dword v98, v97, s[8:9] offset:96
	global_load_dword v99, v99, s[8:9] offset:96
	;; [unrolled: 1-line block ×8, first 2 shown]
	v_add_nc_u16 v8, v16, 0x3b8
	v_cmp_lt_u32_e64 s1, 27, v16
	v_mov_b32_e32 v137, 0x70
	v_mov_b32_e32 v138, 1
	v_lshlrev_b32_e32 v89, 1, v89
	v_lshrrev_b16 v126, 2, v8
	v_mul_u32_u24_e32 v110, 0x70, v110
	v_mul_u32_u24_sdwa v139, v105, v137 dst_sel:DWORD dst_unused:UNUSED_PAD src0_sel:WORD_0 src1_sel:DWORD
	v_lshlrev_b32_sdwa v105, v138, v114 dst_sel:DWORD dst_unused:UNUSED_PAD src0_sel:DWORD src1_sel:WORD_0
	v_mul_u32_u24_e32 v116, 0x70, v116
	v_mul_u32_u24_sdwa v103, v126, v103 dst_sel:DWORD dst_unused:UNUSED_PAD src0_sel:WORD_0 src1_sel:DWORD
	v_cndmask_b32_e64 v126, 0, 0x70, s1
	v_mul_u32_u24_e32 v120, 0x70, v120
	v_lshlrev_b32_sdwa v114, v138, v118 dst_sel:DWORD dst_unused:UNUSED_PAD src0_sel:DWORD src1_sel:WORD_0
	v_mul_u32_u24_e32 v111, 0x70, v111
	v_lshrrev_b32_e32 v103, 17, v103
	v_add3_u32 v89, 0, v126, v89
	v_mul_u32_u24_sdwa v126, v104, v137 dst_sel:DWORD dst_unused:UNUSED_PAD src0_sel:WORD_0 src1_sel:DWORD
	v_mul_u32_u24_sdwa v137, v107, v137 dst_sel:DWORD dst_unused:UNUSED_PAD src0_sel:WORD_0 src1_sel:DWORD
	v_add3_u32 v107, 0, v110, v105
	v_mul_lo_u16 v103, v103, 28
	v_lshlrev_b32_sdwa v110, v138, v122 dst_sel:DWORD dst_unused:UNUSED_PAD src0_sel:DWORD src1_sel:WORD_0
	v_add3_u32 v105, 0, v116, v114
	v_lshlrev_b32_sdwa v104, v138, v113 dst_sel:DWORD dst_unused:UNUSED_PAD src0_sel:DWORD src1_sel:WORD_0
	v_lshlrev_b32_sdwa v113, v138, v115 dst_sel:DWORD dst_unused:UNUSED_PAD src0_sel:DWORD src1_sel:WORD_0
	v_sub_nc_u16 v8, v8, v103
	v_add3_u32 v116, 0, v120, v110
	v_mul_u32_u24_e32 v108, 0x70, v108
	v_mul_u32_u24_e32 v119, 0x70, v119
	v_lshlrev_b32_sdwa v115, v138, v117 dst_sel:DWORD dst_unused:UNUSED_PAD src0_sel:DWORD src1_sel:WORD_0
	v_and_b32_e32 v103, 0xffff, v8
	v_lshlrev_b32_sdwa v117, v138, v106 dst_sel:DWORD dst_unused:UNUSED_PAD src0_sel:DWORD src1_sel:BYTE_0
	v_mul_u32_u24_e32 v127, 0x70, v127
	v_lshlrev_b32_sdwa v122, v138, v129 dst_sel:DWORD dst_unused:UNUSED_PAD src0_sel:DWORD src1_sel:WORD_0
	v_lshlrev_b32_sdwa v129, v138, v133 dst_sel:DWORD dst_unused:UNUSED_PAD src0_sel:DWORD src1_sel:WORD_0
	v_lshlrev_b32_e32 v8, 2, v103
	v_mul_u32_u24_e32 v128, 0x70, v128
	v_lshlrev_b32_sdwa v109, v138, v109 dst_sel:DWORD dst_unused:UNUSED_PAD src0_sel:DWORD src1_sel:BYTE_0
	v_lshlrev_b32_sdwa v133, v138, v134 dst_sel:DWORD dst_unused:UNUSED_PAD src0_sel:DWORD src1_sel:WORD_0
	v_mul_u32_u24_e32 v121, 0x70, v121
	global_load_dword v8, v8, s[8:9] offset:96
	v_mul_u32_u24_e32 v124, 0x70, v124
	v_mul_u32_u24_e32 v130, 0x70, v130
	;; [unrolled: 1-line block ×4, first 2 shown]
	v_lshlrev_b32_sdwa v112, v138, v112 dst_sel:DWORD dst_unused:UNUSED_PAD src0_sel:DWORD src1_sel:BYTE_0
	v_add3_u32 v106, 0, v111, v113
	v_lshlrev_b32_sdwa v111, v138, v123 dst_sel:DWORD dst_unused:UNUSED_PAD src0_sel:DWORD src1_sel:WORD_0
	v_lshlrev_b32_sdwa v113, v138, v125 dst_sel:DWORD dst_unused:UNUSED_PAD src0_sel:DWORD src1_sel:WORD_0
	;; [unrolled: 1-line block ×4, first 2 shown]
	v_add3_u32 v108, 0, v108, v104
	v_add3_u32 v104, 0, v119, v115
	;; [unrolled: 1-line block ×12, first 2 shown]
	s_waitcnt vmcnt(0) lgkmcnt(0)
	s_barrier
	buffer_gl0_inv
	v_lshl_add_u32 v103, v103, 1, 0
	v_mul_f16_sdwa v120, v83, v91 dst_sel:DWORD dst_unused:UNUSED_PAD src0_sel:DWORD src1_sel:WORD_1
	v_mul_f16_sdwa v126, v84, v92 dst_sel:DWORD dst_unused:UNUSED_PAD src0_sel:DWORD src1_sel:WORD_1
	;; [unrolled: 1-line block ×5, first 2 shown]
	v_fma_f16 v120, v33, v91, -v120
	v_mul_f16_sdwa v123, v78, v86 dst_sel:DWORD dst_unused:UNUSED_PAD src0_sel:DWORD src1_sel:WORD_1
	v_mul_f16_sdwa v124, v79, v87 dst_sel:DWORD dst_unused:UNUSED_PAD src0_sel:DWORD src1_sel:WORD_1
	;; [unrolled: 1-line block ×3, first 2 shown]
	v_fma_f16 v122, v29, v11, -v122
	v_sub_f16_e32 v120, v41, v120
	v_fma_f16 v123, v28, v86, -v123
	v_fma_f16 v124, v27, v87, -v124
	;; [unrolled: 1-line block ×3, first 2 shown]
	v_sub_f16_e32 v122, v37, v122
	v_fma_f16 v41, v41, 2.0, -v120
	ds_write_b16 v89, v120 offset:56
	v_fma_f16 v120, v32, v92, -v126
	v_fma_f16 v126, v31, v93, -v127
	;; [unrolled: 1-line block ×3, first 2 shown]
	ds_write_b16 v89, v41
	v_sub_f16_e32 v123, v38, v123
	v_sub_f16_e32 v41, v34, v120
	;; [unrolled: 1-line block ×6, first 2 shown]
	v_fma_f16 v34, v34, 2.0, -v41
	v_fma_f16 v35, v35, 2.0, -v120
	;; [unrolled: 1-line block ×7, first 2 shown]
	v_mul_f16_sdwa v129, v71, v98 dst_sel:DWORD dst_unused:UNUSED_PAD src0_sel:DWORD src1_sel:WORD_1
	v_mul_f16_sdwa v130, v72, v99 dst_sel:DWORD dst_unused:UNUSED_PAD src0_sel:DWORD src1_sel:WORD_1
	;; [unrolled: 1-line block ×9, first 2 shown]
	v_fma_f16 v121, v21, v102, -v121
	v_fma_f16 v128, v15, v98, -v129
	;; [unrolled: 1-line block ×9, first 2 shown]
	v_sub_f16_e32 v121, v51, v121
	v_sub_f16_e32 v127, v42, v128
	;; [unrolled: 1-line block ×9, first 2 shown]
	v_fma_f16 v51, v51, 2.0, -v121
	v_fma_f16 v42, v42, 2.0, -v127
	v_fma_f16 v43, v43, 2.0, -v128
	v_fma_f16 v44, v44, 2.0, -v129
	v_fma_f16 v45, v45, 2.0, -v130
	v_fma_f16 v46, v46, 2.0, -v131
	v_fma_f16 v47, v47, 2.0, -v132
	v_fma_f16 v48, v48, 2.0, -v133
	v_fma_f16 v49, v49, 2.0, -v134
	ds_write_b16 v119, v41 offset:56
	ds_write_b16 v119, v34
	ds_write_b16 v118, v35
	ds_write_b16 v118, v120 offset:56
	ds_write_b16 v117, v36
	ds_write_b16 v117, v126 offset:56
	;; [unrolled: 2-line block ×15, first 2 shown]
	s_and_saveexec_b32 s1, s0
	s_cbranch_execz .LBB0_25
; %bb.24:
	v_mul_f16_sdwa v34, v10, v8 dst_sel:DWORD dst_unused:UNUSED_PAD src0_sel:DWORD src1_sel:WORD_1
	v_fma_f16 v34, v9, v8, -v34
	v_sub_f16_e32 v34, v1, v34
	v_fma_f16 v1, v1, 2.0, -v34
	ds_write_b16 v103, v1 offset:3808
	ds_write_b16 v103, v34 offset:3864
.LBB0_25:
	s_or_b32 exec_lo, exec_lo, s1
	v_mul_f16_sdwa v31, v31, v93 dst_sel:DWORD dst_unused:UNUSED_PAD src0_sel:DWORD src1_sel:WORD_1
	v_mul_f16_sdwa v29, v29, v11 dst_sel:DWORD dst_unused:UNUSED_PAD src0_sel:DWORD src1_sel:WORD_1
	;; [unrolled: 1-line block ×6, first 2 shown]
	v_fmac_f16_e32 v31, v85, v93
	v_mul_f16_sdwa v28, v28, v86 dst_sel:DWORD dst_unused:UNUSED_PAD src0_sel:DWORD src1_sel:WORD_1
	v_mul_f16_sdwa v27, v27, v87 dst_sel:DWORD dst_unused:UNUSED_PAD src0_sel:DWORD src1_sel:WORD_1
	;; [unrolled: 1-line block ×3, first 2 shown]
	v_fmac_f16_e32 v29, v77, v11
	v_fmac_f16_e32 v22, v80, v88
	v_mul_f16_sdwa v11, v15, v98 dst_sel:DWORD dst_unused:UNUSED_PAD src0_sel:DWORD src1_sel:WORD_1
	v_mul_f16_sdwa v14, v14, v99 dst_sel:DWORD dst_unused:UNUSED_PAD src0_sel:DWORD src1_sel:WORD_1
	;; [unrolled: 1-line block ×7, first 2 shown]
	v_fmac_f16_e32 v1, v83, v91
	v_fmac_f16_e32 v32, v84, v92
	;; [unrolled: 1-line block ×11, first 2 shown]
	v_mul_f16_sdwa v4, v4, v96 dst_sel:DWORD dst_unused:UNUSED_PAD src0_sel:DWORD src1_sel:WORD_1
	v_fmac_f16_e32 v3, v69, v94
	v_fmac_f16_e32 v2, v70, v95
	v_sub_f16_e32 v69, v53, v31
	v_sub_f16_e32 v76, v52, v22
	;; [unrolled: 1-line block ×4, first 2 shown]
	v_fmac_f16_e32 v4, v74, v96
	v_sub_f16_e32 v70, v54, v30
	v_sub_f16_e32 v72, v55, v29
	;; [unrolled: 1-line block ×4, first 2 shown]
	v_fma_f16 v75, v53, 2.0, -v69
	v_sub_f16_e32 v77, v68, v21
	v_sub_f16_e32 v78, v65, v11
	;; [unrolled: 1-line block ×4, first 2 shown]
	v_fma_f16 v81, v52, 2.0, -v76
	v_sub_f16_e32 v82, v60, v12
	v_sub_f16_e32 v83, v62, v3
	;; [unrolled: 1-line block ×3, first 2 shown]
	s_waitcnt lgkmcnt(0)
	s_barrier
	buffer_gl0_inv
	ds_read_u16 v41, v17 offset:3472
	ds_read_u16 v42, v17 offset:672
	;; [unrolled: 1-line block ×3, first 2 shown]
	ds_read_u16 v39, v17
	ds_read_u16 v38, v17 offset:112
	ds_read_u16 v3, v17 offset:224
	;; [unrolled: 1-line block ×31, first 2 shown]
	v_fma_f16 v58, v58, 2.0, -v40
	v_sub_f16_e32 v5, v61, v5
	v_sub_f16_e32 v4, v64, v4
	v_fma_f16 v59, v59, 2.0, -v71
	v_fma_f16 v54, v54, 2.0, -v70
	;; [unrolled: 1-line block ×14, first 2 shown]
	s_waitcnt lgkmcnt(0)
	s_barrier
	buffer_gl0_inv
	ds_write_b16 v89, v58
	ds_write_b16 v89, v40 offset:56
	ds_write_b16 v119, v59
	ds_write_b16 v119, v71 offset:56
	;; [unrolled: 2-line block ×17, first 2 shown]
	s_and_saveexec_b32 s1, s0
	s_cbranch_execz .LBB0_27
; %bb.26:
	v_mul_f16_sdwa v4, v9, v8 dst_sel:DWORD dst_unused:UNUSED_PAD src0_sel:DWORD src1_sel:WORD_1
	v_fmac_f16_e32 v4, v10, v8
	v_sub_f16_e32 v4, v50, v4
	v_fma_f16 v5, v50, 2.0, -v4
	ds_write_b16 v103, v5 offset:3808
	ds_write_b16 v103, v4 offset:3864
.LBB0_27:
	s_or_b32 exec_lo, exec_lo, s1
	v_mul_u32_u24_e32 v4, 6, v16
	s_waitcnt lgkmcnt(0)
	s_barrier
	buffer_gl0_inv
	v_mov_b32_e32 v5, 0x2493
	v_lshlrev_b32_e32 v4, 2, v4
	v_lshrrev_b16 v9, 3, v6
	s_clause 0x1
	global_load_dwordx4 v[54:57], v4, s[8:9] offset:208
	global_load_dwordx2 v[71:72], v4, s[8:9] offset:224
	v_lshrrev_b16 v4, 3, v24
	v_and_b32_e32 v9, 31, v9
	v_mul_u32_u24_sdwa v4, v4, v5 dst_sel:DWORD dst_unused:UNUSED_PAD src0_sel:WORD_0 src1_sel:DWORD
	v_lshrrev_b16 v5, 3, v26
	v_mul_lo_u16 v9, v9, 37
	v_lshrrev_b32_e32 v4, 16, v4
	v_and_b32_e32 v5, 31, v5
	v_lshrrev_b16 v9, 8, v9
	v_mul_lo_u16 v4, v4, 56
	v_mul_lo_u16 v5, v5, 37
	v_sub_nc_u16 v4, v24, v4
	v_lshrrev_b16 v5, 8, v5
	v_and_b32_e32 v4, 0xffff, v4
	v_mul_lo_u16 v5, v5, 56
	v_mul_u32_u24_e32 v8, 6, v4
	v_sub_nc_u16 v5, v26, v5
	v_lshlrev_b32_e32 v8, 2, v8
	s_clause 0x1
	global_load_dwordx4 v[58:61], v8, s[8:9] offset:208
	global_load_dwordx2 v[73:74], v8, s[8:9] offset:224
	v_and_b32_e32 v8, 0xff, v5
	v_mul_lo_u16 v5, v9, 56
	v_mul_u32_u24_e32 v9, 6, v8
	v_sub_nc_u16 v5, v6, v5
	v_lshl_add_u32 v8, v8, 1, 0
	v_lshlrev_b32_e32 v9, 2, v9
	v_and_b32_e32 v5, 0xff, v5
	global_load_dwordx4 v[63:66], v9, s[8:9] offset:208
	v_mul_u32_u24_e32 v10, 6, v5
	v_lshlrev_b32_e32 v10, 2, v10
	s_clause 0x2
	global_load_dwordx2 v[75:76], v9, s[8:9] offset:224
	global_load_dwordx4 v[67:70], v10, s[8:9] offset:208
	global_load_dwordx2 v[77:78], v10, s[8:9] offset:224
	ds_read_u16 v10, v17 offset:1680
	ds_read_u16 v50, v17 offset:3360
	;; [unrolled: 1-line block ×6, first 2 shown]
	ds_read_u16 v82, v17
	ds_read_u16 v83, v17 offset:112
	ds_read_u16 v84, v17 offset:224
	;; [unrolled: 1-line block ×28, first 2 shown]
	s_waitcnt vmcnt(0) lgkmcnt(0)
	s_barrier
	buffer_gl0_inv
	v_mul_f16_sdwa v109, v79, v54 dst_sel:DWORD dst_unused:UNUSED_PAD src0_sel:DWORD src1_sel:WORD_1
	v_mul_f16_sdwa v110, v48, v54 dst_sel:DWORD dst_unused:UNUSED_PAD src0_sel:DWORD src1_sel:WORD_1
	;; [unrolled: 1-line block ×24, first 2 shown]
	v_fma_f16 v48, v48, v54, -v109
	v_fmac_f16_e32 v110, v79, v54
	v_fma_f16 v52, v52, v55, -v111
	v_fmac_f16_e32 v112, v86, v55
	;; [unrolled: 2-line block ×12, first 2 shown]
	v_add_f16_e32 v50, v48, v49
	v_add_f16_e32 v53, v110, v120
	v_sub_f16_e32 v48, v48, v49
	v_sub_f16_e32 v49, v110, v120
	v_add_f16_e32 v54, v52, v51
	v_add_f16_e32 v55, v112, v118
	v_sub_f16_e32 v51, v52, v51
	v_sub_f16_e32 v52, v112, v118
	;; [unrolled: 4-line block ×5, first 2 shown]
	v_add_f16_e32 v80, v44, v45
	v_sub_f16_e32 v44, v45, v44
	v_sub_f16_e32 v45, v128, v126
	v_add_f16_e32 v86, v126, v128
	v_add_f16_e32 v87, v54, v50
	;; [unrolled: 1-line block ×3, first 2 shown]
	v_sub_f16_e32 v93, v54, v50
	v_sub_f16_e32 v94, v55, v53
	;; [unrolled: 1-line block ×6, first 2 shown]
	v_add_f16_e32 v97, v10, v51
	v_add_f16_e32 v98, v47, v52
	v_sub_f16_e32 v109, v10, v51
	v_sub_f16_e32 v110, v47, v52
	;; [unrolled: 1-line block ×5, first 2 shown]
	v_add_f16_e32 v10, v72, v62
	v_add_f16_e32 v112, v79, v71
	;; [unrolled: 1-line block ×4, first 2 shown]
	v_sub_f16_e32 v117, v44, v43
	v_sub_f16_e32 v118, v45, v46
	;; [unrolled: 1-line block ×13, first 2 shown]
	v_add_f16_e32 v56, v56, v87
	v_add_f16_e32 v57, v57, v90
	;; [unrolled: 1-line block ×4, first 2 shown]
	v_mul_f16_e32 v50, 0x3a52, v50
	v_mul_f16_e32 v53, 0x3a52, v53
	;; [unrolled: 1-line block ×8, first 2 shown]
	v_add_f16_e32 v80, v80, v10
	v_add_f16_e32 v86, v86, v112
	v_mul_f16_e32 v117, 0xb846, v117
	v_mul_f16_e32 v118, 0xb846, v118
	;; [unrolled: 1-line block ×4, first 2 shown]
	v_add_f16_e32 v41, v115, v41
	v_add_f16_e32 v42, v116, v42
	v_mul_f16_e32 v112, 0x3a52, v62
	v_mul_f16_e32 v71, 0x3a52, v71
	;; [unrolled: 1-line block ×4, first 2 shown]
	v_add_f16_e32 v39, v39, v56
	v_add_f16_e32 v10, v82, v57
	v_fmamk_f16 v54, v54, 0x2b26, v50
	v_fmamk_f16 v55, v55, 0x2b26, v53
	v_fma_f16 v82, v93, 0x39e0, -v87
	v_fma_f16 v87, v94, 0x39e0, -v90
	;; [unrolled: 1-line block ×4, first 2 shown]
	v_fmamk_f16 v90, v111, 0x3574, v97
	v_fmamk_f16 v93, v47, 0x3574, v98
	v_fma_f16 v51, v51, 0x3b00, -v97
	v_fma_f16 v52, v52, 0x3b00, -v98
	;; [unrolled: 1-line block ×4, first 2 shown]
	v_add_f16_e32 v38, v38, v80
	v_add_f16_e32 v62, v83, v86
	v_fmamk_f16 v109, v44, 0x3574, v117
	v_fmamk_f16 v110, v45, 0x3574, v118
	v_fma_f16 v43, v43, 0x3b00, -v117
	v_fma_f16 v46, v46, 0x3b00, -v118
	;; [unrolled: 1-line block ×4, first 2 shown]
	v_fmamk_f16 v72, v72, 0x2b26, v112
	v_fmamk_f16 v79, v79, 0x2b26, v71
	v_fma_f16 v83, v113, 0x39e0, -v115
	v_fma_f16 v97, v114, 0x39e0, -v116
	;; [unrolled: 1-line block ×4, first 2 shown]
	v_mul_f16_sdwa v111, v102, v58 dst_sel:DWORD dst_unused:UNUSED_PAD src0_sel:DWORD src1_sel:WORD_1
	v_mul_f16_sdwa v112, v35, v58 dst_sel:DWORD dst_unused:UNUSED_PAD src0_sel:DWORD src1_sel:WORD_1
	;; [unrolled: 1-line block ×8, first 2 shown]
	v_fmamk_f16 v56, v56, 0xbcab, v39
	v_fmamk_f16 v57, v57, 0xbcab, v10
	v_fmac_f16_e32 v90, 0x370e, v48
	v_fmac_f16_e32 v93, 0x370e, v49
	;; [unrolled: 1-line block ×6, first 2 shown]
	v_fmamk_f16 v48, v80, 0xbcab, v38
	v_fmamk_f16 v49, v86, 0xbcab, v62
	v_fmac_f16_e32 v109, 0x370e, v41
	v_fmac_f16_e32 v110, 0x370e, v42
	;; [unrolled: 1-line block ×6, first 2 shown]
	v_mul_f16_sdwa v41, v81, v63 dst_sel:DWORD dst_unused:UNUSED_PAD src0_sel:DWORD src1_sel:WORD_1
	v_mul_f16_sdwa v42, v13, v63 dst_sel:DWORD dst_unused:UNUSED_PAD src0_sel:DWORD src1_sel:WORD_1
	;; [unrolled: 1-line block ×18, first 2 shown]
	v_fma_f16 v35, v35, v58, -v111
	v_fmac_f16_e32 v112, v102, v58
	v_fma_f16 v32, v32, v59, -v113
	v_fmac_f16_e32 v114, v101, v59
	;; [unrolled: 2-line block ×4, first 2 shown]
	v_add_f16_e32 v54, v54, v56
	v_add_f16_e32 v55, v55, v57
	;; [unrolled: 1-line block ×12, first 2 shown]
	v_fma_f16 v13, v13, v63, -v41
	v_fmac_f16_e32 v42, v81, v63
	v_fma_f16 v22, v22, v64, -v80
	v_fmac_f16_e32 v86, v88, v64
	;; [unrolled: 2-line block ×4, first 2 shown]
	v_mul_f16_sdwa v131, v85, v67 dst_sel:DWORD dst_unused:UNUSED_PAD src0_sel:DWORD src1_sel:WORD_1
	v_mul_f16_sdwa v132, v11, v67 dst_sel:DWORD dst_unused:UNUSED_PAD src0_sel:DWORD src1_sel:WORD_1
	;; [unrolled: 1-line block ×6, first 2 shown]
	v_fma_f16 v33, v33, v73, -v119
	v_fmac_f16_e32 v120, v104, v73
	v_fma_f16 v36, v36, v74, -v121
	v_fmac_f16_e32 v122, v108, v74
	;; [unrolled: 2-line block ×5, first 2 shown]
	v_sub_f16_e32 v65, v53, v94
	v_add_f16_e32 v69, v94, v53
	v_add_f16_e32 v53, v45, v48
	v_sub_f16_e32 v72, v49, v44
	v_add_f16_e32 v73, v43, v61
	v_sub_f16_e32 v74, v61, v43
	v_sub_f16_e32 v43, v48, v45
	v_add_f16_e32 v75, v44, v49
	v_add_f16_e32 v45, v13, v31
	;; [unrolled: 1-line block ×3, first 2 shown]
	v_sub_f16_e32 v13, v13, v31
	v_sub_f16_e32 v31, v42, v130
	v_add_f16_e32 v42, v22, v29
	v_add_f16_e32 v49, v86, v128
	v_mul_f16_sdwa v139, v100, v77 dst_sel:DWORD dst_unused:UNUSED_PAD src0_sel:DWORD src1_sel:WORD_1
	v_mul_f16_sdwa v140, v21, v77 dst_sel:DWORD dst_unused:UNUSED_PAD src0_sel:DWORD src1_sel:WORD_1
	;; [unrolled: 1-line block ×4, first 2 shown]
	v_fma_f16 v11, v11, v67, -v131
	v_fmac_f16_e32 v132, v85, v67
	v_fma_f16 v12, v12, v68, -v133
	v_fmac_f16_e32 v134, v89, v68
	v_fma_f16 v15, v15, v70, -v137
	v_fmac_f16_e32 v138, v96, v70
	v_sub_f16_e32 v63, v55, v90
	v_sub_f16_e32 v66, v58, v52
	v_add_f16_e32 v67, v51, v59
	v_add_f16_e32 v52, v52, v58
	v_sub_f16_e32 v68, v59, v51
	v_add_f16_e32 v70, v90, v55
	v_add_f16_e32 v51, v110, v56
	v_sub_f16_e32 v71, v57, v109
	v_sub_f16_e32 v44, v56, v110
	v_add_f16_e32 v76, v109, v57
	v_sub_f16_e32 v22, v22, v29
	v_sub_f16_e32 v29, v86, v128
	v_add_f16_e32 v55, v27, v28
	v_add_f16_e32 v56, v124, v126
	v_sub_f16_e32 v27, v28, v27
	v_sub_f16_e32 v28, v126, v124
	v_add_f16_e32 v57, v42, v45
	v_add_f16_e32 v58, v49, v48
	v_fma_f16 v21, v21, v77, -v139
	v_fmac_f16_e32 v140, v100, v77
	v_fma_f16 v30, v30, v78, -v141
	v_fmac_f16_e32 v142, v107, v78
	v_add_f16_e32 v41, v93, v54
	v_add_f16_e32 v64, v47, v50
	v_sub_f16_e32 v47, v50, v47
	v_sub_f16_e32 v50, v54, v93
	;; [unrolled: 1-line block ×3, first 2 shown]
	v_add_f16_e32 v46, v46, v60
	v_sub_f16_e32 v59, v42, v45
	v_sub_f16_e32 v60, v49, v48
	;; [unrolled: 1-line block ×6, first 2 shown]
	v_add_f16_e32 v61, v27, v22
	v_add_f16_e32 v77, v28, v29
	v_sub_f16_e32 v78, v27, v22
	v_sub_f16_e32 v79, v28, v29
	;; [unrolled: 1-line block ×4, first 2 shown]
	v_add_f16_e32 v55, v55, v57
	v_add_f16_e32 v56, v56, v58
	v_sub_f16_e32 v27, v13, v27
	v_sub_f16_e32 v28, v31, v28
	v_add_f16_e32 v13, v61, v13
	v_add_f16_e32 v31, v77, v31
	v_mul_f16_e32 v45, 0x3a52, v45
	v_mul_f16_e32 v48, 0x3a52, v48
	v_add_f16_e32 v3, v3, v55
	v_add_f16_e32 v77, v84, v56
	v_mul_f16_e32 v57, 0x2b26, v42
	v_mul_f16_e32 v58, 0x2b26, v49
	;; [unrolled: 1-line block ×6, first 2 shown]
	v_fmamk_f16 v55, v55, 0xbcab, v3
	v_fmamk_f16 v56, v56, 0xbcab, v77
	;; [unrolled: 1-line block ×4, first 2 shown]
	v_fma_f16 v57, v59, 0x39e0, -v57
	v_fma_f16 v58, v60, 0x39e0, -v58
	v_fma_f16 v45, v59, 0xb9e0, -v45
	v_fma_f16 v48, v60, 0xb9e0, -v48
	v_fmamk_f16 v59, v27, 0x3574, v61
	v_fmamk_f16 v60, v28, 0x3574, v78
	v_fma_f16 v27, v27, 0xb574, -v79
	v_fma_f16 v28, v28, 0xb574, -v80
	;; [unrolled: 1-line block ×4, first 2 shown]
	v_add_f16_e32 v42, v42, v55
	v_add_f16_e32 v49, v49, v56
	;; [unrolled: 1-line block ×4, first 2 shown]
	v_fmac_f16_e32 v59, 0x370e, v13
	v_fmac_f16_e32 v60, 0x370e, v31
	;; [unrolled: 1-line block ×4, first 2 shown]
	v_add_f16_e32 v57, v57, v55
	v_add_f16_e32 v58, v58, v56
	v_fmac_f16_e32 v22, 0x370e, v13
	v_fmac_f16_e32 v29, 0x370e, v31
	v_add_f16_e32 v13, v60, v42
	v_sub_f16_e32 v78, v49, v59
	v_add_f16_e32 v31, v28, v45
	v_sub_f16_e32 v79, v48, v27
	v_sub_f16_e32 v28, v45, v28
	v_add_f16_e32 v81, v27, v48
	v_sub_f16_e32 v27, v42, v60
	v_add_f16_e32 v82, v59, v49
	v_add_f16_e32 v42, v11, v30
	;; [unrolled: 1-line block ×5, first 2 shown]
	v_sub_f16_e32 v55, v57, v29
	v_add_f16_e32 v80, v22, v58
	v_add_f16_e32 v29, v29, v57
	v_sub_f16_e32 v22, v58, v22
	v_sub_f16_e32 v11, v11, v30
	;; [unrolled: 1-line block ×5, first 2 shown]
	v_add_f16_e32 v56, v14, v15
	v_add_f16_e32 v57, v136, v138
	v_sub_f16_e32 v14, v15, v14
	v_sub_f16_e32 v15, v138, v136
	v_add_f16_e32 v58, v48, v42
	v_add_f16_e32 v59, v49, v45
	v_sub_f16_e32 v60, v48, v42
	v_sub_f16_e32 v61, v49, v45
	;; [unrolled: 1-line block ×6, first 2 shown]
	v_add_f16_e32 v83, v14, v12
	v_add_f16_e32 v84, v15, v21
	v_sub_f16_e32 v85, v14, v12
	v_sub_f16_e32 v86, v15, v21
	v_sub_f16_e32 v12, v12, v11
	v_add_f16_e32 v56, v56, v58
	v_add_f16_e32 v57, v57, v59
	v_sub_f16_e32 v21, v21, v30
	v_sub_f16_e32 v14, v11, v14
	;; [unrolled: 1-line block ×3, first 2 shown]
	v_add_f16_e32 v11, v83, v11
	v_add_f16_e32 v30, v84, v30
	;; [unrolled: 1-line block ×4, first 2 shown]
	v_mul_f16_e32 v40, 0x3a52, v42
	v_mul_f16_e32 v42, 0x3a52, v45
	;; [unrolled: 1-line block ×8, first 2 shown]
	v_fmamk_f16 v56, v56, 0xbcab, v2
	v_fmamk_f16 v57, v57, 0xbcab, v83
	;; [unrolled: 1-line block ×4, first 2 shown]
	v_fma_f16 v45, v60, 0x39e0, -v45
	v_fma_f16 v58, v61, 0x39e0, -v58
	;; [unrolled: 1-line block ×4, first 2 shown]
	v_fmamk_f16 v60, v14, 0x3574, v59
	v_fmamk_f16 v61, v15, 0x3574, v84
	v_fma_f16 v21, v21, 0x3b00, -v84
	v_fma_f16 v14, v14, 0xb574, -v85
	;; [unrolled: 1-line block ×4, first 2 shown]
	v_add_f16_e32 v48, v48, v56
	v_add_f16_e32 v49, v49, v57
	;; [unrolled: 1-line block ×5, first 2 shown]
	v_fmac_f16_e32 v60, 0x370e, v11
	v_fmac_f16_e32 v61, 0x370e, v30
	v_fmac_f16_e32 v15, 0x370e, v30
	v_fmac_f16_e32 v14, 0x370e, v11
	v_fmac_f16_e32 v21, 0x370e, v30
	v_add_f16_e32 v58, v58, v57
	v_fmac_f16_e32 v12, 0x370e, v11
	v_add_f16_e32 v11, v61, v48
	v_sub_f16_e32 v84, v49, v60
	v_add_f16_e32 v30, v15, v40
	v_sub_f16_e32 v85, v42, v14
	v_sub_f16_e32 v56, v45, v21
	v_add_f16_e32 v21, v21, v45
	v_sub_f16_e32 v15, v40, v15
	v_add_f16_e32 v14, v14, v42
	;; [unrolled: 2-line block ×3, first 2 shown]
	v_add_f16_e32 v42, v35, v36
	v_add_f16_e32 v45, v112, v122
	;; [unrolled: 1-line block ×5, first 2 shown]
	v_sub_f16_e32 v12, v58, v12
	v_sub_f16_e32 v35, v35, v36
	;; [unrolled: 1-line block ×5, first 2 shown]
	v_add_f16_e32 v57, v34, v37
	v_add_f16_e32 v58, v116, v118
	v_sub_f16_e32 v34, v37, v34
	v_sub_f16_e32 v37, v118, v116
	v_add_f16_e32 v59, v48, v42
	v_add_f16_e32 v60, v49, v45
	v_sub_f16_e32 v61, v48, v42
	v_sub_f16_e32 v88, v49, v45
	;; [unrolled: 1-line block ×6, first 2 shown]
	v_add_f16_e32 v89, v34, v32
	v_add_f16_e32 v90, v37, v33
	v_sub_f16_e32 v91, v34, v32
	v_sub_f16_e32 v92, v37, v33
	;; [unrolled: 1-line block ×3, first 2 shown]
	v_add_f16_e32 v57, v57, v59
	v_add_f16_e32 v58, v58, v60
	v_sub_f16_e32 v33, v33, v36
	v_sub_f16_e32 v34, v35, v34
	;; [unrolled: 1-line block ×3, first 2 shown]
	v_add_f16_e32 v35, v89, v35
	v_add_f16_e32 v36, v90, v36
	;; [unrolled: 1-line block ×4, first 2 shown]
	v_mul_f16_e32 v42, 0x3a52, v42
	v_mul_f16_e32 v45, 0x3a52, v45
	;; [unrolled: 1-line block ×8, first 2 shown]
	v_fmamk_f16 v57, v57, 0xbcab, v1
	v_fmamk_f16 v58, v58, 0xbcab, v9
	;; [unrolled: 1-line block ×4, first 2 shown]
	v_fma_f16 v59, v61, 0x39e0, -v59
	v_fma_f16 v60, v88, 0x39e0, -v60
	;; [unrolled: 1-line block ×4, first 2 shown]
	v_fmamk_f16 v61, v34, 0x3574, v89
	v_fmamk_f16 v88, v37, 0x3574, v90
	v_fma_f16 v32, v32, 0x3b00, -v89
	v_fma_f16 v33, v33, 0x3b00, -v90
	;; [unrolled: 1-line block ×4, first 2 shown]
	v_add_f16_e32 v48, v48, v57
	v_add_f16_e32 v59, v59, v57
	;; [unrolled: 1-line block ×5, first 2 shown]
	v_fmac_f16_e32 v88, 0x370e, v36
	v_fmac_f16_e32 v32, 0x370e, v35
	;; [unrolled: 1-line block ×5, first 2 shown]
	v_add_f16_e32 v49, v49, v58
	v_fmac_f16_e32 v61, 0x370e, v35
	ds_write_b16 v17, v39
	ds_write_b16 v17, v41 offset:112
	ds_write_b16 v17, v64 offset:224
	;; [unrolled: 1-line block ×7, first 2 shown]
	ds_write_b16 v0, v51
	ds_write_b16 v17, v53 offset:1008
	ds_write_b16 v17, v54 offset:1120
	;; [unrolled: 1-line block ×8, first 2 shown]
	v_lshl_add_u32 v3, v5, 1, 0
	v_add_f16_e32 v35, v88, v48
	v_add_f16_e32 v36, v37, v42
	v_sub_f16_e32 v90, v45, v34
	v_sub_f16_e32 v57, v59, v33
	v_add_f16_e32 v91, v32, v60
	v_add_f16_e32 v33, v33, v59
	v_sub_f16_e32 v92, v60, v32
	v_sub_f16_e32 v32, v42, v37
	v_add_f16_e32 v93, v34, v45
	v_sub_f16_e32 v34, v48, v88
	ds_write_b16 v8, v55 offset:1904
	ds_write_b16 v8, v29 offset:2016
	;; [unrolled: 1-line block ×7, first 2 shown]
	v_lshl_add_u32 v2, v4, 1, 0
	v_sub_f16_e32 v89, v49, v61
	v_add_f16_e32 v88, v61, v49
	ds_write_b16 v3, v56 offset:2688
	ds_write_b16 v3, v21 offset:2800
	;; [unrolled: 1-line block ×11, first 2 shown]
	s_waitcnt lgkmcnt(0)
	s_barrier
	buffer_gl0_inv
	ds_read_u16 v33, v17 offset:1680
	ds_read_u16 v34, v17 offset:2464
	ds_read_u16 v38, v17 offset:2576
	ds_read_u16 v35, v17 offset:3248
	ds_read_u16 v39, v17 offset:3360
	ds_read_u16 v45, v17 offset:3472
	ds_read_u16 v27, v17
	ds_read_u16 v29, v17 offset:112
	ds_read_u16 v37, v17 offset:224
	;; [unrolled: 1-line block ×28, first 2 shown]
	s_waitcnt lgkmcnt(0)
	s_barrier
	buffer_gl0_inv
	ds_write_b16 v17, v10
	ds_write_b16 v17, v63 offset:112
	ds_write_b16 v17, v65 offset:224
	;; [unrolled: 1-line block ×7, first 2 shown]
	ds_write_b16 v0, v71
	ds_write_b16 v17, v72 offset:1008
	ds_write_b16 v17, v73 offset:1120
	;; [unrolled: 1-line block ×26, first 2 shown]
	s_waitcnt lgkmcnt(0)
	s_barrier
	buffer_gl0_inv
	s_and_saveexec_b32 s0, vcc_lo
	s_cbranch_execz .LBB0_29
; %bb.28:
	v_lshlrev_b32_e32 v21, 2, v23
	v_mov_b32_e32 v22, 0
	v_lshlrev_b32_e32 v4, 2, v7
	v_lshlrev_b32_e32 v7, 2, v24
	v_lshlrev_b32_e32 v9, 2, v6
	v_lshlrev_b32_e32 v66, 2, v26
	v_lshlrev_b64 v[0:1], 2, v[21:22]
	v_mov_b32_e32 v5, v22
	v_mov_b32_e32 v8, v22
	;; [unrolled: 1-line block ×4, first 2 shown]
	v_lshlrev_b32_e32 v65, 2, v16
	v_add_co_u32 v0, vcc_lo, s8, v0
	v_add_co_ci_u32_e32 v1, vcc_lo, s9, v1, vcc_lo
	v_lshlrev_b64 v[4:5], 2, v[4:5]
	v_lshlrev_b64 v[7:8], 2, v[7:8]
	;; [unrolled: 1-line block ×3, first 2 shown]
	global_load_dwordx4 v[0:3], v[0:1], off offset:1552
	v_mov_b32_e32 v66, v22
	v_lshlrev_b32_e32 v25, 2, v25
	v_add_co_u32 v4, vcc_lo, s8, v4
	v_add_co_ci_u32_e32 v5, vcc_lo, s9, v5, vcc_lo
	v_lshlrev_b64 v[69:70], 2, v[65:66]
	v_mov_b32_e32 v26, v22
	v_mul_hi_u32 v24, 0x5397829d, v24
	global_load_dwordx4 v[12:15], v[4:5], off offset:1552
	v_add_co_u32 v4, vcc_lo, s8, v7
	v_lshlrev_b64 v[6:7], 2, v[9:10]
	v_add_co_ci_u32_e32 v5, vcc_lo, s9, v8, vcc_lo
	v_lshlrev_b64 v[25:26], 2, v[25:26]
	v_lshrrev_b32_e32 v24, 7, v24
	global_load_dwordx4 v[8:11], v[4:5], off offset:1552
	v_add_co_u32 v4, vcc_lo, s8, v6
	v_add_co_ci_u32_e32 v5, vcc_lo, s9, v7, vcc_lo
	v_add_co_u32 v67, vcc_lo, s8, v67
	v_add_co_ci_u32_e32 v68, vcc_lo, s9, v68, vcc_lo
	global_load_dwordx4 v[4:7], v[4:5], off offset:1552
	ds_read_u16 v77, v17 offset:1456
	ds_read_u16 v78, v17 offset:3808
	;; [unrolled: 1-line block ×21, first 2 shown]
	global_load_dwordx4 v[65:68], v[67:68], off offset:1552
	v_add_co_u32 v25, vcc_lo, s8, v25
	v_add_co_ci_u32_e32 v26, vcc_lo, s9, v26, vcc_lo
	v_add_co_u32 v73, vcc_lo, s8, v69
	v_add_co_ci_u32_e32 v74, vcc_lo, s9, v70, vcc_lo
	ds_read_u16 v94, v17 offset:672
	ds_read_u16 v95, v17 offset:560
	;; [unrolled: 1-line block ×7, first 2 shown]
	s_clause 0x1
	global_load_dwordx4 v[69:72], v[25:26], off offset:1552
	global_load_dwordx4 v[73:76], v[73:74], off offset:1552
	ds_read_u16 v102, v17 offset:1344
	ds_read_u16 v108, v17 offset:1232
	;; [unrolled: 1-line block ×3, first 2 shown]
	s_waitcnt vmcnt(6)
	v_lshrrev_b32_e32 v101, 16, v2
	s_waitcnt lgkmcnt(22)
	v_mul_f16_e32 v107, v2, v82
	v_lshrrev_b32_e32 v25, 16, v0
	v_lshrrev_b32_e32 v26, 16, v1
	v_mul_f16_e32 v103, v0, v77
	v_mul_f16_e32 v82, v101, v82
	v_fmac_f16_e32 v107, v60, v101
	ds_read_u16 v101, v17 offset:1120
	s_waitcnt lgkmcnt(16)
	v_mul_f16_e32 v104, v1, v88
	v_lshrrev_b32_e32 v105, 16, v3
	v_mul_f16_e32 v106, v3, v78
	v_fmac_f16_e32 v103, v58, v25
	v_mul_f16_e32 v25, v25, v77
	v_fmac_f16_e32 v104, v59, v26
	;; [unrolled: 2-line block ×3, first 2 shown]
	v_mul_f16_e32 v77, v105, v78
	s_waitcnt vmcnt(5)
	v_lshrrev_b32_e32 v78, 16, v12
	v_lshrrev_b32_e32 v88, 16, v13
	v_lshrrev_b32_e32 v105, 16, v14
	v_lshrrev_b32_e32 v109, 16, v15
	s_waitcnt lgkmcnt(3)
	v_mul_f16_e32 v110, v12, v102
	v_mul_f16_e32 v111, v13, v89
	v_mul_f16_e32 v112, v15, v79
	v_mul_f16_e32 v113, v14, v83
	s_waitcnt vmcnt(4)
	v_lshrrev_b32_e32 v115, 16, v9
	v_lshrrev_b32_e32 v116, 16, v10
	v_lshrrev_b32_e32 v114, 16, v8
	v_lshrrev_b32_e32 v117, 16, v11
	s_waitcnt lgkmcnt(2)
	v_mul_f16_e32 v118, v8, v108
	v_mul_f16_e32 v119, v9, v90
	v_mul_f16_e32 v120, v11, v80
	v_mul_f16_e32 v121, v10, v84
	s_waitcnt vmcnt(3)
	v_lshrrev_b32_e32 v122, 16, v4
	v_lshrrev_b32_e32 v123, 16, v5
	v_lshrrev_b32_e32 v124, 16, v6
	v_lshrrev_b32_e32 v125, 16, v7
	s_waitcnt lgkmcnt(0)
	v_mul_f16_e32 v127, v4, v101
	v_mul_f16_e32 v128, v5, v91
	v_mul_f16_e32 v129, v7, v81
	v_mul_f16_e32 v130, v6, v85
	v_fma_f16 v26, v59, v1, -v26
	v_fma_f16 v59, v60, v2, -v82
	;; [unrolled: 1-line block ×4, first 2 shown]
	v_add_f16_e32 v77, v103, v94
	v_fmac_f16_e32 v110, v53, v78
	v_fmac_f16_e32 v111, v55, v88
	v_fmac_f16_e32 v112, v57, v109
	v_fmac_f16_e32 v113, v56, v105
	v_mul_f16_e32 v82, v88, v89
	v_mul_f16_e32 v83, v105, v83
	;; [unrolled: 1-line block ×6, first 2 shown]
	v_sub_f16_e32 v131, v103, v104
	v_sub_f16_e32 v132, v106, v107
	v_add_f16_e32 v0, v104, v107
	v_sub_f16_e32 v61, v104, v107
	v_sub_f16_e32 v1, v104, v103
	;; [unrolled: 1-line block ×3, first 2 shown]
	v_add_f16_e32 v25, v103, v106
	v_fmac_f16_e32 v118, v50, v114
	v_fmac_f16_e32 v119, v51, v115
	;; [unrolled: 1-line block ×3, first 2 shown]
	v_mul_f16_e32 v89, v114, v108
	v_mul_f16_e32 v80, v117, v80
	v_fmac_f16_e32 v127, v47, v122
	v_fmac_f16_e32 v128, v48, v123
	;; [unrolled: 1-line block ×4, first 2 shown]
	v_mul_f16_e32 v90, v123, v91
	v_mul_f16_e32 v85, v124, v85
	;; [unrolled: 1-line block ×4, first 2 shown]
	v_sub_f16_e32 v105, v2, v26
	v_sub_f16_e32 v108, v58, v59
	v_add_f16_e32 v109, v26, v59
	v_add_f16_e32 v115, v2, v58
	;; [unrolled: 1-line block ×4, first 2 shown]
	v_fma_f16 v55, v55, v13, -v82
	v_fma_f16 v56, v56, v14, -v83
	;; [unrolled: 1-line block ×4, first 2 shown]
	v_add_f16_e32 v13, v111, v113
	v_sub_f16_e32 v14, v111, v110
	v_sub_f16_e32 v15, v113, v112
	v_add_f16_e32 v79, v110, v112
	v_fma_f16 v88, v51, v9, -v88
	v_fma_f16 v84, v52, v10, -v84
	v_fmac_f16_e32 v121, v52, v116
	v_add_f16_e32 v101, v131, v132
	v_sub_f16_e32 v102, v26, v59
	v_fma_f16 v0, -0.5, v0, v94
	v_add_f16_e32 v114, v1, v3
	v_fma_f16 v1, -0.5, v25, v94
	v_sub_f16_e32 v25, v26, v2
	v_sub_f16_e32 v94, v59, v58
	v_add_f16_e32 v82, v110, v95
	v_sub_f16_e32 v83, v118, v119
	v_fma_f16 v8, v50, v8, -v89
	v_fma_f16 v54, v54, v11, -v80
	v_sub_f16_e32 v80, v118, v120
	v_sub_f16_e32 v10, v119, v118
	v_add_f16_e32 v50, v118, v120
	v_add_f16_e32 v51, v118, v96
	v_sub_f16_e32 v52, v127, v128
	v_sub_f16_e32 v118, v129, v130
	v_fma_f16 v90, v48, v5, -v90
	v_fma_f16 v85, v49, v6, -v85
	;; [unrolled: 1-line block ×4, first 2 shown]
	v_add_f16_e32 v45, v128, v130
	v_add_f16_e32 v105, v105, v108
	v_fma_f16 v4, -0.5, v109, v46
	v_fma_f16 v5, -0.5, v115, v46
	v_add_f16_e32 v26, v104, v26
	v_fma_f16 v6, -0.5, v13, v95
	v_sub_f16_e32 v13, v12, v55
	v_sub_f16_e32 v108, v53, v56
	v_add_f16_e32 v109, v55, v56
	v_add_f16_e32 v115, v14, v15
	v_fma_f16 v7, -0.5, v79, v95
	v_sub_f16_e32 v14, v55, v12
	v_sub_f16_e32 v79, v56, v53
	v_add_f16_e32 v95, v12, v53
	v_add_f16_e32 v131, v88, v84
	v_sub_f16_e32 v60, v103, v106
	v_sub_f16_e32 v103, v2, v58
	;; [unrolled: 1-line block ×7, first 2 shown]
	v_add_f16_e32 v9, v119, v121
	v_sub_f16_e32 v11, v121, v120
	v_fmamk_f16 v3, v102, 0xbb9c, v1
	v_add_f16_e32 v94, v25, v94
	v_fmac_f16_e32 v1, 0x3b9c, v102
	v_add_f16_e32 v46, v107, v77
	v_sub_f16_e32 v107, v12, v53
	v_add_f16_e32 v82, v111, v82
	v_add_f16_e32 v111, v44, v12
	v_fma_f16 v25, -0.5, v50, v96
	v_add_f16_e32 v134, v8, v54
	v_add_f16_e32 v135, v43, v8
	;; [unrolled: 1-line block ×3, first 2 shown]
	v_fma_f16 v48, -0.5, v45, v97
	v_sub_f16_e32 v45, v91, v90
	v_sub_f16_e32 v52, v81, v85
	v_add_f16_e32 v26, v26, v59
	v_add_f16_e32 v59, v13, v108
	v_fma_f16 v13, -0.5, v109, v44
	v_add_f16_e32 v79, v14, v79
	v_fma_f16 v14, -0.5, v95, v44
	v_fma_f16 v50, -0.5, v131, v43
	v_sub_f16_e32 v89, v119, v121
	v_sub_f16_e32 v122, v127, v129
	;; [unrolled: 1-line block ×3, first 2 shown]
	v_add_f16_e32 v124, v127, v129
	v_add_f16_e32 v125, v127, v97
	v_fmamk_f16 v2, v103, 0x3b9c, v0
	v_fmac_f16_e32 v0, 0xbb9c, v103
	v_add_f16_e32 v77, v116, v117
	v_sub_f16_e32 v104, v55, v56
	v_add_f16_e32 v83, v83, v110
	v_sub_f16_e32 v110, v88, v84
	v_sub_f16_e32 v116, v8, v54
	v_fma_f16 v15, -0.5, v9, v96
	v_sub_f16_e32 v117, v8, v88
	v_sub_f16_e32 v127, v54, v84
	v_add_f16_e32 v132, v10, v11
	v_sub_f16_e32 v96, v88, v8
	v_add_f16_e32 v119, v119, v51
	v_fmac_f16_e32 v3, 0x38b4, v103
	v_fmamk_f16 v9, v61, 0x3b9c, v5
	v_fmac_f16_e32 v1, 0xb8b4, v103
	v_fmac_f16_e32 v5, 0xbb9c, v61
	v_fmamk_f16 v11, v107, 0x3b9c, v6
	v_fmac_f16_e32 v6, 0xbb9c, v107
	v_add_f16_e32 v55, v111, v55
	v_fma_f16 v51, -0.5, v134, v43
	v_add_f16_e32 v88, v135, v88
	v_add_f16_e32 v103, v45, v52
	v_fmamk_f16 v43, v57, 0xbb9c, v13
	v_fmamk_f16 v45, v78, 0x3b9c, v14
	v_fmac_f16_e32 v14, 0xbb9c, v78
	v_fmac_f16_e32 v13, 0x3b9c, v57
	v_fmamk_f16 v52, v80, 0xbb9c, v50
	v_fmac_f16_e32 v50, 0x3b9c, v80
	v_fmamk_f16 v8, v60, 0xbb9c, v4
	v_fmac_f16_e32 v4, 0x3b9c, v60
	v_add_f16_e32 v10, v106, v46
	v_add_f16_e32 v46, v113, v82
	v_fmamk_f16 v44, v116, 0x3b9c, v15
	v_add_f16_e32 v82, v117, v127
	v_fmac_f16_e32 v15, 0xbb9c, v116
	v_fmac_f16_e32 v9, 0xb8b4, v60
	;; [unrolled: 1-line block ×5, first 2 shown]
	v_add_f16_e32 v55, v55, v56
	v_fmamk_f16 v56, v89, 0x3b9c, v51
	v_fmac_f16_e32 v51, 0xbb9c, v89
	v_add_f16_e32 v60, v88, v84
	v_fmac_f16_e32 v43, 0xb8b4, v78
	v_fmac_f16_e32 v45, 0xb8b4, v57
	;; [unrolled: 1-line block ×6, first 2 shown]
	v_sub_f16_e32 v133, v84, v54
	v_fmac_f16_e32 v44, 0x38b4, v110
	v_fmac_f16_e32 v15, 0xb8b4, v110
	;; [unrolled: 1-line block ×6, first 2 shown]
	v_add_f16_e32 v54, v54, v60
	v_fmac_f16_e32 v43, 0x34f2, v59
	v_fmac_f16_e32 v45, 0x34f2, v79
	;; [unrolled: 1-line block ×6, first 2 shown]
	s_waitcnt vmcnt(2)
	v_lshrrev_b32_e32 v57, 16, v65
	v_lshrrev_b32_e32 v59, 16, v66
	ds_read_u16 v60, v17 offset:896
	v_mul_f16_e32 v77, v65, v126
	v_mul_f16_e32 v78, v66, v92
	v_lshrrev_b32_e32 v79, 16, v68
	v_mul_f16_e32 v80, v68, v21
	v_lshrrev_b32_e32 v82, 16, v67
	v_add_f16_e32 v138, v90, v85
	v_add_f16_e32 v140, v91, v81
	v_fmac_f16_e32 v44, 0x34f2, v83
	v_fmac_f16_e32 v15, 0x34f2, v83
	;; [unrolled: 1-line block ×4, first 2 shown]
	v_mul_f16_e32 v83, v67, v86
	v_fmac_f16_e32 v80, v39, v79
	v_mul_f16_e32 v57, v57, v126
	v_mul_f16_e32 v21, v79, v21
	;; [unrolled: 1-line block ×4, first 2 shown]
	v_fma_f16 v106, -0.5, v138, v42
	v_fma_f16 v109, -0.5, v140, v42
	v_add_f16_e32 v42, v42, v91
	v_fmac_f16_e32 v83, v38, v82
	v_fma_f16 v40, v40, v65, -v57
	ds_read_u16 v65, v17 offset:112
	v_fma_f16 v21, v39, v68, -v21
	v_fma_f16 v41, v41, v66, -v59
	;; [unrolled: 1-line block ×3, first 2 shown]
	v_sub_f16_e32 v49, v130, v129
	v_add_f16_e32 v42, v42, v90
	v_add_f16_e32 v57, v78, v83
	v_sub_f16_e32 v79, v40, v41
	v_add_f16_e32 v66, v41, v38
	v_sub_f16_e32 v82, v21, v38
	;; [unrolled: 2-line block ×3, first 2 shown]
	v_add_f16_e32 v139, v47, v49
	v_fma_f16 v49, -0.5, v124, v97
	v_sub_f16_e32 v124, v85, v81
	v_sub_f16_e32 v88, v77, v78
	;; [unrolled: 1-line block ×4, first 2 shown]
	v_fma_f16 v57, -0.5, v57, v98
	v_add_f16_e32 v42, v42, v85
	v_sub_f16_e32 v67, v41, v38
	v_fma_f16 v66, -0.5, v66, v37
	v_sub_f16_e32 v85, v77, v80
	v_add_f16_e32 v79, v79, v82
	v_add_f16_e32 v82, v40, v21
	v_fma_f16 v86, -0.5, v86, v98
	v_sub_f16_e32 v97, v90, v91
	v_add_f16_e32 v39, v88, v39
	v_fmamk_f16 v68, v59, 0x3b9c, v57
	v_fmamk_f16 v88, v85, 0xbb9c, v66
	v_sub_f16_e32 v89, v78, v83
	v_sub_f16_e32 v90, v78, v77
	v_fma_f16 v82, -0.5, v82, v37
	v_fmamk_f16 v92, v67, 0xbb9c, v86
	v_fmac_f16_e32 v86, 0x3b9c, v67
	v_fmac_f16_e32 v57, 0xbb9c, v59
	;; [unrolled: 1-line block ×3, first 2 shown]
	v_add_f16_e32 v77, v77, v98
	v_add_f16_e32 v37, v37, v40
	;; [unrolled: 1-line block ×3, first 2 shown]
	v_fmac_f16_e32 v68, 0x38b4, v67
	v_fmac_f16_e32 v88, 0xb8b4, v89
	;; [unrolled: 1-line block ×6, first 2 shown]
	v_add_f16_e32 v59, v78, v77
	v_add_f16_e32 v37, v37, v41
	v_fmac_f16_e32 v9, 0x34f2, v94
	v_fmac_f16_e32 v5, 0x34f2, v94
	;; [unrolled: 1-line block ×4, first 2 shown]
	v_sub_f16_e32 v94, v41, v40
	v_sub_f16_e32 v95, v38, v21
	v_fmac_f16_e32 v68, 0x34f2, v39
	v_fmac_f16_e32 v88, 0x34f2, v79
	;; [unrolled: 1-line block ×4, first 2 shown]
	v_add_f16_e32 v39, v83, v59
	s_waitcnt vmcnt(1)
	v_lshrrev_b32_e32 v40, 16, v69
	v_lshrrev_b32_e32 v59, 16, v70
	s_waitcnt lgkmcnt(1)
	v_mul_f16_e32 v67, v69, v60
	v_mul_f16_e32 v77, v70, v99
	v_lshrrev_b32_e32 v41, 16, v72
	v_mul_f16_e32 v78, v72, v62
	v_add_f16_e32 v37, v37, v38
	v_lshrrev_b32_e32 v38, 16, v71
	v_mul_f16_e32 v79, v71, v87
	v_fmac_f16_e32 v67, v36, v40
	v_fmac_f16_e32 v77, v33, v59
	;; [unrolled: 1-line block ×3, first 2 shown]
	v_mul_f16_e32 v40, v40, v60
	v_mul_f16_e32 v41, v41, v62
	v_fmac_f16_e32 v79, v34, v38
	v_mul_f16_e32 v59, v59, v99
	v_mul_f16_e32 v38, v38, v87
	v_sub_f16_e32 v137, v91, v81
	v_add_f16_e32 v96, v121, v119
	v_sub_f16_e32 v91, v83, v80
	v_add_f16_e32 v39, v80, v39
	v_sub_f16_e32 v80, v67, v77
	v_fma_f16 v36, v36, v69, -v40
	v_fma_f16 v35, v35, v72, -v41
	v_sub_f16_e32 v40, v78, v79
	v_fma_f16 v33, v33, v70, -v59
	v_fma_f16 v34, v34, v71, -v38
	v_add_f16_e32 v71, v67, v78
	v_add_f16_e32 v26, v58, v26
	;; [unrolled: 1-line block ×3, first 2 shown]
	v_fmamk_f16 v96, v89, 0x3b9c, v82
	v_fmac_f16_e32 v82, 0xbb9c, v89
	v_add_f16_e32 v41, v77, v79
	v_add_f16_e32 v37, v21, v37
	;; [unrolled: 1-line block ×4, first 2 shown]
	v_sub_f16_e32 v59, v33, v34
	v_sub_f16_e32 v62, v36, v33
	;; [unrolled: 1-line block ×3, first 2 shown]
	s_waitcnt lgkmcnt(0)
	v_fma_f16 v71, -0.5, v71, v65
	v_fmac_f16_e32 v96, 0xb8b4, v85
	v_fmac_f16_e32 v82, 0x38b4, v85
	v_sub_f16_e32 v38, v36, v35
	v_fma_f16 v41, -0.5, v41, v65
	v_fma_f16 v40, -0.5, v40, v29
	v_sub_f16_e32 v70, v67, v78
	v_add_f16_e32 v62, v62, v69
	v_add_f16_e32 v69, v36, v35
	v_fmamk_f16 v85, v59, 0xbb9c, v71
	v_fmac_f16_e32 v71, 0x3b9c, v59
	v_add_f16_e32 v65, v67, v65
	v_fmamk_f16 v60, v38, 0x3b9c, v41
	v_fmamk_f16 v72, v70, 0xbb9c, v40
	v_sub_f16_e32 v80, v77, v79
	v_fma_f16 v69, -0.5, v69, v29
	v_fmac_f16_e32 v85, 0x38b4, v38
	v_fmac_f16_e32 v71, 0xb8b4, v38
	;; [unrolled: 1-line block ×4, first 2 shown]
	v_add_f16_e32 v38, v77, v65
	v_add_f16_e32 v29, v29, v36
	v_fmac_f16_e32 v60, 0x38b4, v59
	v_fmac_f16_e32 v72, 0xb8b4, v80
	;; [unrolled: 1-line block ×4, first 2 shown]
	v_add_f16_e32 v38, v79, v38
	v_add_f16_e32 v29, v29, v33
	v_sub_f16_e32 v87, v33, v36
	v_sub_f16_e32 v89, v34, v35
	v_fmac_f16_e32 v60, 0x34f2, v21
	v_fmac_f16_e32 v72, 0x34f2, v62
	;; [unrolled: 1-line block ×4, first 2 shown]
	v_add_f16_e32 v21, v78, v38
	s_waitcnt vmcnt(0)
	v_lshrrev_b32_e32 v33, 16, v73
	v_lshrrev_b32_e32 v36, 16, v74
	v_mul_f16_e32 v38, v73, v93
	v_mul_f16_e32 v59, v74, v100
	v_add_f16_e32 v29, v29, v34
	v_lshrrev_b32_e32 v34, 16, v75
	v_lshrrev_b32_e32 v62, 16, v76
	v_add_f16_e32 v42, v81, v42
	ds_read_u16 v17, v17
	v_sub_f16_e32 v81, v77, v67
	v_fmac_f16_e32 v38, v28, v33
	v_fmac_f16_e32 v59, v31, v36
	v_mul_f16_e32 v65, v76, v63
	v_mul_f16_e32 v67, v75, v64
	;; [unrolled: 1-line block ×6, first 2 shown]
	v_fmac_f16_e32 v67, v32, v34
	v_fma_f16 v31, v31, v74, -v36
	v_fma_f16 v32, v32, v75, -v64
	;; [unrolled: 1-line block ×4, first 2 shown]
	v_fmac_f16_e32 v65, v30, v62
	v_sub_f16_e32 v36, v38, v59
	v_add_f16_e32 v34, v59, v67
	v_sub_f16_e32 v74, v28, v31
	v_sub_f16_e32 v75, v33, v32
	;; [unrolled: 1-line block ×3, first 2 shown]
	v_add_f16_e32 v90, v90, v91
	v_add_f16_e32 v30, v31, v32
	v_add_f16_e32 v35, v35, v29
	v_add_f16_e32 v29, v28, v33
	v_add_f16_e32 v36, v36, v63
	v_add_f16_e32 v63, v74, v75
	v_add_f16_e32 v74, v38, v65
	s_waitcnt lgkmcnt(0)
	v_fma_f16 v34, -0.5, v34, v17
	v_fmac_f16_e32 v92, 0x34f2, v90
	v_fmac_f16_e32 v86, 0x34f2, v90
	v_fmamk_f16 v90, v80, 0x3b9c, v69
	v_fma_f16 v74, -0.5, v74, v17
	v_add_f16_e32 v17, v38, v17
	v_fmac_f16_e32 v69, 0xbb9c, v80
	v_sub_f16_e32 v62, v28, v33
	v_sub_f16_e32 v83, v79, v78
	v_fma_f16 v30, -0.5, v30, v27
	v_fma_f16 v29, -0.5, v29, v27
	v_add_f16_e32 v27, v27, v28
	v_sub_f16_e32 v64, v38, v65
	v_add_f16_e32 v17, v59, v17
	v_fmac_f16_e32 v90, 0xb8b4, v70
	v_fmac_f16_e32 v69, 0x38b4, v70
	v_sub_f16_e32 v70, v31, v32
	v_fmamk_f16 v73, v62, 0x3b9c, v34
	v_fmac_f16_e32 v34, 0xbb9c, v62
	v_add_f16_e32 v81, v81, v83
	v_add_f16_e32 v27, v27, v31
	v_fmamk_f16 v76, v64, 0xbb9c, v30
	v_sub_f16_e32 v77, v59, v67
	v_fmac_f16_e32 v30, 0x3b9c, v64
	v_sub_f16_e32 v80, v31, v28
	v_add_f16_e32 v28, v67, v17
	v_mov_b32_e32 v17, v22
	v_add_f16_e32 v83, v87, v89
	v_fmac_f16_e32 v73, 0x38b4, v70
	v_fmac_f16_e32 v34, 0xb8b4, v70
	;; [unrolled: 1-line block ×4, first 2 shown]
	v_sub_f16_e32 v81, v32, v33
	v_add_f16_e32 v32, v27, v32
	v_fmac_f16_e32 v30, 0x38b4, v77
	v_add_f16_e32 v31, v65, v28
	v_lshlrev_b64 v[27:28], 2, v[16:17]
	v_fmac_f16_e32 v90, 0x34f2, v83
	v_fmac_f16_e32 v69, 0x34f2, v83
	;; [unrolled: 1-line block ×3, first 2 shown]
	v_sub_f16_e32 v75, v59, v38
	v_sub_f16_e32 v78, v67, v65
	v_fmamk_f16 v79, v70, 0xbb9c, v74
	v_fmac_f16_e32 v74, 0x3b9c, v70
	v_fmamk_f16 v83, v77, 0x3b9c, v29
	v_fmac_f16_e32 v29, 0xbb9c, v77
	v_fmac_f16_e32 v34, 0x34f2, v36
	v_add_co_u32 v36, vcc_lo, s2, v18
	v_add_co_ci_u32_e32 v38, vcc_lo, s3, v19, vcc_lo
	v_add_f16_e32 v19, v33, v32
	v_fmac_f16_e32 v30, 0x34f2, v63
	v_add_f16_e32 v75, v75, v78
	v_fmac_f16_e32 v74, 0xb8b4, v62
	;; [unrolled: 2-line block ×3, first 2 shown]
	v_add_co_u32 v17, vcc_lo, v36, v27
	v_add_co_ci_u32_e32 v18, vcc_lo, v38, v28, vcc_lo
	v_pack_b32_f16 v19, v19, v31
	v_pack_b32_f16 v27, v30, v34
	v_fmac_f16_e32 v79, 0x38b4, v62
	v_fmac_f16_e32 v83, 0xb8b4, v64
	;; [unrolled: 1-line block ×5, first 2 shown]
	global_store_dword v[17:18], v19, off
	global_store_dword v[17:18], v27, off offset:1568
	v_add_co_u32 v27, vcc_lo, 0x800, v17
	v_fmac_f16_e32 v79, 0x34f2, v75
	v_fmac_f16_e32 v83, 0x34f2, v78
	v_add_co_ci_u32_e32 v28, vcc_lo, 0, v18, vcc_lo
	v_fmac_f16_e32 v76, 0x34f2, v63
	v_pack_b32_f16 v19, v29, v74
	v_add_co_u32 v29, vcc_lo, 0x1000, v17
	v_add_co_ci_u32_e32 v30, vcc_lo, 0, v18, vcc_lo
	v_add_co_u32 v31, vcc_lo, 0x1800, v17
	v_pack_b32_f16 v33, v83, v79
	v_pack_b32_f16 v34, v76, v73
	v_add_co_ci_u32_e32 v32, vcc_lo, 0, v18, vcc_lo
	v_pack_b32_f16 v21, v35, v21
	v_pack_b32_f16 v35, v40, v41
	global_store_dword v[27:28], v19, off offset:1088
	global_store_dword v[29:30], v33, off offset:608
	;; [unrolled: 1-line block ×5, first 2 shown]
	v_pack_b32_f16 v19, v69, v71
	v_mov_b32_e32 v21, v22
	v_add_f16_e32 v91, v94, v95
	v_add_f16_e32 v53, v53, v55
	v_add_f16_e32 v55, v128, v125
	v_sub_f16_e32 v123, v128, v130
	global_store_dword v[27:28], v19, off offset:1312
	v_lshlrev_b64 v[19:20], 2, v[20:21]
	v_fmac_f16_e32 v82, 0x34f2, v91
	v_pack_b32_f16 v33, v90, v85
	v_pack_b32_f16 v21, v66, v57
	v_fmac_f16_e32 v2, 0x38b4, v102
	v_fmac_f16_e32 v0, 0xb8b4, v102
	v_fmamk_f16 v102, v137, 0x3b9c, v48
	v_fmac_f16_e32 v48, 0xbb9c, v137
	v_fmac_f16_e32 v8, 0xb8b4, v61
	;; [unrolled: 1-line block ×3, first 2 shown]
	v_fmamk_f16 v61, v122, 0xbb9c, v106
	v_fmac_f16_e32 v106, 0x3b9c, v122
	v_add_f16_e32 v55, v130, v55
	v_pack_b32_f16 v34, v72, v60
	v_fmamk_f16 v108, v136, 0xbb9c, v49
	v_fmac_f16_e32 v49, 0x3b9c, v136
	v_fmamk_f16 v84, v123, 0x3b9c, v109
	v_fmac_f16_e32 v109, 0xbb9c, v123
	v_pack_b32_f16 v35, v37, v39
	v_add_co_u32 v19, vcc_lo, v36, v19
	v_fmac_f16_e32 v96, 0x34f2, v91
	global_store_dword v[29:30], v33, off offset:832
	global_store_dword v[31:32], v34, off offset:352
	;; [unrolled: 1-line block ×3, first 2 shown]
	v_add_co_ci_u32_e32 v20, vcc_lo, v38, v20, vcc_lo
	v_pack_b32_f16 v33, v82, v86
	global_store_dword v[17:18], v21, off offset:2016
	v_or_b32_e32 v21, 0x540, v16
	v_fmac_f16_e32 v48, 0xb8b4, v136
	v_fmac_f16_e32 v106, 0x38b4, v123
	v_add_f16_e32 v55, v129, v55
	v_add_f16_e32 v97, v97, v124
	v_fmac_f16_e32 v49, 0xb8b4, v137
	v_fmac_f16_e32 v109, 0x38b4, v122
	;; [unrolled: 1-line block ×6, first 2 shown]
	v_pack_b32_f16 v34, v96, v92
	global_store_dword v[19:20], v33, off
	v_lshlrev_b64 v[19:20], 2, v[21:22]
	v_mul_u32_u24_e32 v21, 0x620, v24
	v_fmac_f16_e32 v48, 0x34f2, v118
	v_fmac_f16_e32 v106, 0x34f2, v103
	v_pack_b32_f16 v35, v88, v68
	v_pack_b32_f16 v16, v42, v55
	v_fmac_f16_e32 v49, 0x34f2, v139
	v_fmac_f16_e32 v109, 0x34f2, v97
	;; [unrolled: 1-line block ×6, first 2 shown]
	global_store_dword v[29:30], v34, off offset:1056
	global_store_dword v[31:32], v35, off offset:576
	v_lshlrev_b64 v[33:34], 2, v[21:22]
	global_store_dword v[17:18], v16, off offset:672
	v_pack_b32_f16 v16, v106, v48
	v_add_co_u32 v19, vcc_lo, v36, v19
	v_pack_b32_f16 v35, v109, v49
	v_add_co_ci_u32_e32 v20, vcc_lo, v38, v20, vcc_lo
	v_pack_b32_f16 v24, v84, v108
	v_pack_b32_f16 v36, v61, v102
	global_store_dword v[27:28], v16, off offset:192
	global_store_dword v[27:28], v35, off offset:1760
	global_store_dword v[19:20], v24, off
	global_store_dword v[31:32], v36, off offset:800
	v_add_co_u32 v19, vcc_lo, v17, v33
	v_add_co_ci_u32_e32 v20, vcc_lo, v18, v34, vcc_lo
	v_mul_hi_u32 v36, 0x5397829d, v23
	v_add_co_u32 v33, vcc_lo, 0x380, v19
	v_fmamk_f16 v12, v104, 0xbb9c, v7
	v_fmac_f16_e32 v7, 0x3b9c, v104
	v_add_co_ci_u32_e32 v34, vcc_lo, 0, v20, vcc_lo
	v_pack_b32_f16 v21, v50, v15
	v_fmamk_f16 v47, v110, 0xbb9c, v25
	v_fmac_f16_e32 v25, 0x3b9c, v110
	v_fmac_f16_e32 v7, 0xb8b4, v107
	v_pack_b32_f16 v16, v54, v58
	global_store_dword v[33:34], v21, off offset:1568
	v_lshrrev_b32_e32 v21, 7, v36
	v_fmac_f16_e32 v25, 0xb8b4, v116
	v_fmac_f16_e32 v47, 0x38b4, v116
	;; [unrolled: 1-line block ×3, first 2 shown]
	v_add_co_u32 v15, vcc_lo, 0x800, v19
	v_mul_u32_u24_e32 v21, 0x620, v21
	v_fmac_f16_e32 v25, 0x34f2, v132
	v_fmac_f16_e32 v47, 0x34f2, v132
	global_store_dword v[19:20], v16, off offset:896
	v_add_co_ci_u32_e32 v16, vcc_lo, 0, v20, vcc_lo
	v_fmac_f16_e32 v12, 0x38b4, v107
	v_add_co_u32 v23, vcc_lo, 0x1000, v19
	v_add_co_ci_u32_e32 v24, vcc_lo, 0, v20, vcc_lo
	v_pack_b32_f16 v13, v13, v6
	v_pack_b32_f16 v14, v14, v7
	v_lshlrev_b64 v[6:7], 2, v[21:22]
	v_add_f16_e32 v46, v112, v46
	v_pack_b32_f16 v25, v51, v25
	v_add_co_u32 v19, vcc_lo, 0x1800, v19
	v_pack_b32_f16 v35, v56, v47
	v_fmac_f16_e32 v12, 0x34f2, v115
	v_pack_b32_f16 v37, v52, v44
	v_add_co_ci_u32_e32 v20, vcc_lo, 0, v20, vcc_lo
	global_store_dword v[15:16], v25, off offset:1984
	global_store_dword v[23:24], v35, off offset:1504
	;; [unrolled: 1-line block ×3, first 2 shown]
	v_pack_b32_f16 v15, v53, v46
	v_pack_b32_f16 v11, v43, v11
	v_add_co_u32 v6, vcc_lo, v17, v6
	v_pack_b32_f16 v12, v45, v12
	v_add_co_ci_u32_e32 v7, vcc_lo, v18, v7, vcc_lo
	v_fmac_f16_e32 v0, 0x34f2, v101
	v_fmac_f16_e32 v4, 0x34f2, v105
	;; [unrolled: 1-line block ×3, first 2 shown]
	global_store_dword v[17:18], v15, off offset:1120
	global_store_dword v[27:28], v13, off offset:640
	;; [unrolled: 1-line block ×5, first 2 shown]
	v_add_co_u32 v11, vcc_lo, 0x540, v6
	v_fmac_f16_e32 v2, 0x34f2, v101
	v_fmac_f16_e32 v8, 0x34f2, v105
	;; [unrolled: 1-line block ×3, first 2 shown]
	v_add_co_ci_u32_e32 v12, vcc_lo, 0, v7, vcc_lo
	v_pack_b32_f16 v4, v4, v0
	v_add_co_u32 v0, vcc_lo, 0x1000, v6
	v_pack_b32_f16 v10, v26, v10
	v_pack_b32_f16 v5, v5, v1
	v_add_co_ci_u32_e32 v1, vcc_lo, 0, v7, vcc_lo
	v_pack_b32_f16 v8, v8, v2
	v_add_co_u32 v2, vcc_lo, 0x1800, v6
	v_pack_b32_f16 v9, v9, v3
	v_add_co_ci_u32_e32 v3, vcc_lo, 0, v7, vcc_lo
	global_store_dword v[6:7], v10, off offset:1344
	global_store_dword v[11:12], v4, off offset:1568
	;; [unrolled: 1-line block ×5, first 2 shown]
.LBB0_29:
	s_endpgm
	.section	.rodata,"a",@progbits
	.p2align	6, 0x0
	.amdhsa_kernel fft_rtc_fwd_len1960_factors_4_7_2_7_5_wgs_56_tpt_56_halfLds_half_ip_CI_unitstride_sbrr_dirReg
		.amdhsa_group_segment_fixed_size 0
		.amdhsa_private_segment_fixed_size 0
		.amdhsa_kernarg_size 88
		.amdhsa_user_sgpr_count 6
		.amdhsa_user_sgpr_private_segment_buffer 1
		.amdhsa_user_sgpr_dispatch_ptr 0
		.amdhsa_user_sgpr_queue_ptr 0
		.amdhsa_user_sgpr_kernarg_segment_ptr 1
		.amdhsa_user_sgpr_dispatch_id 0
		.amdhsa_user_sgpr_flat_scratch_init 0
		.amdhsa_user_sgpr_private_segment_size 0
		.amdhsa_wavefront_size32 1
		.amdhsa_uses_dynamic_stack 0
		.amdhsa_system_sgpr_private_segment_wavefront_offset 0
		.amdhsa_system_sgpr_workgroup_id_x 1
		.amdhsa_system_sgpr_workgroup_id_y 0
		.amdhsa_system_sgpr_workgroup_id_z 0
		.amdhsa_system_sgpr_workgroup_info 0
		.amdhsa_system_vgpr_workitem_id 0
		.amdhsa_next_free_vgpr 149
		.amdhsa_next_free_sgpr 21
		.amdhsa_reserve_vcc 1
		.amdhsa_reserve_flat_scratch 0
		.amdhsa_float_round_mode_32 0
		.amdhsa_float_round_mode_16_64 0
		.amdhsa_float_denorm_mode_32 3
		.amdhsa_float_denorm_mode_16_64 3
		.amdhsa_dx10_clamp 1
		.amdhsa_ieee_mode 1
		.amdhsa_fp16_overflow 0
		.amdhsa_workgroup_processor_mode 1
		.amdhsa_memory_ordered 1
		.amdhsa_forward_progress 0
		.amdhsa_shared_vgpr_count 0
		.amdhsa_exception_fp_ieee_invalid_op 0
		.amdhsa_exception_fp_denorm_src 0
		.amdhsa_exception_fp_ieee_div_zero 0
		.amdhsa_exception_fp_ieee_overflow 0
		.amdhsa_exception_fp_ieee_underflow 0
		.amdhsa_exception_fp_ieee_inexact 0
		.amdhsa_exception_int_div_zero 0
	.end_amdhsa_kernel
	.text
.Lfunc_end0:
	.size	fft_rtc_fwd_len1960_factors_4_7_2_7_5_wgs_56_tpt_56_halfLds_half_ip_CI_unitstride_sbrr_dirReg, .Lfunc_end0-fft_rtc_fwd_len1960_factors_4_7_2_7_5_wgs_56_tpt_56_halfLds_half_ip_CI_unitstride_sbrr_dirReg
                                        ; -- End function
	.section	.AMDGPU.csdata,"",@progbits
; Kernel info:
; codeLenInByte = 21008
; NumSgprs: 23
; NumVgprs: 149
; ScratchSize: 0
; MemoryBound: 0
; FloatMode: 240
; IeeeMode: 1
; LDSByteSize: 0 bytes/workgroup (compile time only)
; SGPRBlocks: 2
; VGPRBlocks: 18
; NumSGPRsForWavesPerEU: 23
; NumVGPRsForWavesPerEU: 149
; Occupancy: 6
; WaveLimiterHint : 1
; COMPUTE_PGM_RSRC2:SCRATCH_EN: 0
; COMPUTE_PGM_RSRC2:USER_SGPR: 6
; COMPUTE_PGM_RSRC2:TRAP_HANDLER: 0
; COMPUTE_PGM_RSRC2:TGID_X_EN: 1
; COMPUTE_PGM_RSRC2:TGID_Y_EN: 0
; COMPUTE_PGM_RSRC2:TGID_Z_EN: 0
; COMPUTE_PGM_RSRC2:TIDIG_COMP_CNT: 0
	.text
	.p2alignl 6, 3214868480
	.fill 48, 4, 3214868480
	.type	__hip_cuid_78628df7f290e0df,@object ; @__hip_cuid_78628df7f290e0df
	.section	.bss,"aw",@nobits
	.globl	__hip_cuid_78628df7f290e0df
__hip_cuid_78628df7f290e0df:
	.byte	0                               ; 0x0
	.size	__hip_cuid_78628df7f290e0df, 1

	.ident	"AMD clang version 19.0.0git (https://github.com/RadeonOpenCompute/llvm-project roc-6.4.0 25133 c7fe45cf4b819c5991fe208aaa96edf142730f1d)"
	.section	".note.GNU-stack","",@progbits
	.addrsig
	.addrsig_sym __hip_cuid_78628df7f290e0df
	.amdgpu_metadata
---
amdhsa.kernels:
  - .args:
      - .actual_access:  read_only
        .address_space:  global
        .offset:         0
        .size:           8
        .value_kind:     global_buffer
      - .offset:         8
        .size:           8
        .value_kind:     by_value
      - .actual_access:  read_only
        .address_space:  global
        .offset:         16
        .size:           8
        .value_kind:     global_buffer
      - .actual_access:  read_only
        .address_space:  global
        .offset:         24
        .size:           8
        .value_kind:     global_buffer
      - .offset:         32
        .size:           8
        .value_kind:     by_value
      - .actual_access:  read_only
        .address_space:  global
        .offset:         40
        .size:           8
        .value_kind:     global_buffer
      - .actual_access:  read_only
        .address_space:  global
        .offset:         48
        .size:           8
        .value_kind:     global_buffer
      - .offset:         56
        .size:           4
        .value_kind:     by_value
      - .actual_access:  read_only
        .address_space:  global
        .offset:         64
        .size:           8
        .value_kind:     global_buffer
      - .actual_access:  read_only
        .address_space:  global
        .offset:         72
        .size:           8
        .value_kind:     global_buffer
      - .address_space:  global
        .offset:         80
        .size:           8
        .value_kind:     global_buffer
    .group_segment_fixed_size: 0
    .kernarg_segment_align: 8
    .kernarg_segment_size: 88
    .language:       OpenCL C
    .language_version:
      - 2
      - 0
    .max_flat_workgroup_size: 56
    .name:           fft_rtc_fwd_len1960_factors_4_7_2_7_5_wgs_56_tpt_56_halfLds_half_ip_CI_unitstride_sbrr_dirReg
    .private_segment_fixed_size: 0
    .sgpr_count:     23
    .sgpr_spill_count: 0
    .symbol:         fft_rtc_fwd_len1960_factors_4_7_2_7_5_wgs_56_tpt_56_halfLds_half_ip_CI_unitstride_sbrr_dirReg.kd
    .uniform_work_group_size: 1
    .uses_dynamic_stack: false
    .vgpr_count:     149
    .vgpr_spill_count: 0
    .wavefront_size: 32
    .workgroup_processor_mode: 1
amdhsa.target:   amdgcn-amd-amdhsa--gfx1030
amdhsa.version:
  - 1
  - 2
...

	.end_amdgpu_metadata
